;; amdgpu-corpus repo=ROCm/rocSPARSE kind=compiled arch=gfx1201 opt=O3
	.amdgcn_target "amdgcn-amd-amdhsa--gfx1201"
	.amdhsa_code_object_version 6
	.section	.text._ZN9rocsparse31csrmmnn_row_split_shared_kernelILj256ELj8EfiifffEEvNS_24const_host_device_scalarIT1_EES3_bbbT3_S4_llPKT2_PKS4_PKT4_PKT5_llPT6_ll16rocsparse_order_21rocsparse_index_base_,"axG",@progbits,_ZN9rocsparse31csrmmnn_row_split_shared_kernelILj256ELj8EfiifffEEvNS_24const_host_device_scalarIT1_EES3_bbbT3_S4_llPKT2_PKS4_PKT4_PKT5_llPT6_ll16rocsparse_order_21rocsparse_index_base_,comdat
	.protected	_ZN9rocsparse31csrmmnn_row_split_shared_kernelILj256ELj8EfiifffEEvNS_24const_host_device_scalarIT1_EES3_bbbT3_S4_llPKT2_PKS4_PKT4_PKT5_llPT6_ll16rocsparse_order_21rocsparse_index_base_ ; -- Begin function _ZN9rocsparse31csrmmnn_row_split_shared_kernelILj256ELj8EfiifffEEvNS_24const_host_device_scalarIT1_EES3_bbbT3_S4_llPKT2_PKS4_PKT4_PKT5_llPT6_ll16rocsparse_order_21rocsparse_index_base_
	.globl	_ZN9rocsparse31csrmmnn_row_split_shared_kernelILj256ELj8EfiifffEEvNS_24const_host_device_scalarIT1_EES3_bbbT3_S4_llPKT2_PKS4_PKT4_PKT5_llPT6_ll16rocsparse_order_21rocsparse_index_base_
	.p2align	8
	.type	_ZN9rocsparse31csrmmnn_row_split_shared_kernelILj256ELj8EfiifffEEvNS_24const_host_device_scalarIT1_EES3_bbbT3_S4_llPKT2_PKS4_PKT4_PKT5_llPT6_ll16rocsparse_order_21rocsparse_index_base_,@function
_ZN9rocsparse31csrmmnn_row_split_shared_kernelILj256ELj8EfiifffEEvNS_24const_host_device_scalarIT1_EES3_bbbT3_S4_llPKT2_PKS4_PKT4_PKT5_llPT6_ll16rocsparse_order_21rocsparse_index_base_: ; @_ZN9rocsparse31csrmmnn_row_split_shared_kernelILj256ELj8EfiifffEEvNS_24const_host_device_scalarIT1_EES3_bbbT3_S4_llPKT2_PKS4_PKT4_PKT5_llPT6_ll16rocsparse_order_21rocsparse_index_base_
; %bb.0:
	s_clause 0x1
	s_load_b96 s[24:26], s[0:1], 0x10
	s_load_b128 s[20:23], s[0:1], 0x0
	s_wait_kmcnt 0x0
	s_bitcmp1_b32 s24, 0
	s_cselect_b32 s2, -1, 0
	s_delay_alu instid0(SALU_CYCLE_1)
	s_and_b32 vcc_lo, exec_lo, s2
	s_xor_b32 s2, s2, -1
	s_cbranch_vccnz .LBB0_2
; %bb.1:
	s_load_b32 s20, s[20:21], 0x0
.LBB0_2:
	s_and_not1_b32 vcc_lo, exec_lo, s2
	s_cbranch_vccnz .LBB0_4
; %bb.3:
	s_load_b32 s22, s[22:23], 0x0
.LBB0_4:
	s_wait_kmcnt 0x0
	s_cmp_eq_f32 s20, 0
	s_cselect_b32 s2, -1, 0
	s_cmp_eq_f32 s22, 1.0
	s_cselect_b32 s3, -1, 0
	s_delay_alu instid0(SALU_CYCLE_1) | instskip(NEXT) | instid1(SALU_CYCLE_1)
	s_and_b32 s2, s2, s3
	s_and_b32 vcc_lo, exec_lo, s2
	s_cbranch_vccnz .LBB0_21
; %bb.5:
	v_lshl_or_b32 v1, ttmp9, 8, v0
	s_mov_b32 s2, exec_lo
	s_delay_alu instid0(VALU_DEP_1) | instskip(NEXT) | instid1(VALU_DEP_1)
	v_lshrrev_b32_e32 v4, 3, v1
	v_cmpx_gt_i32_e64 s25, v4
	s_cbranch_execz .LBB0_21
; %bb.6:
	s_load_b512 s[4:19], s[0:1], 0x20
	s_mov_b32 s25, 0
	s_lshr_b32 s24, ttmp7, 16
	v_lshlrev_b32_e32 v3, 2, v4
	v_dual_mov_b32 v7, 0 :: v_dual_and_b32 v6, 7, v0
	s_wait_kmcnt 0x0
	s_wait_alu 0xfffe
	s_mul_u64 s[2:3], s[4:5], s[24:25]
	s_load_b64 s[4:5], s[0:1], 0x78
	s_lshl_b64 s[2:3], s[2:3], 2
	s_delay_alu instid0(SALU_CYCLE_1)
	s_add_nc_u64 s[2:3], s[8:9], s[2:3]
	global_load_b64 v[1:2], v3, s[2:3]
	s_and_b32 s2, ttmp7, 0xffff
	s_mov_b32 s3, exec_lo
	v_lshl_or_b32 v5, s2, 3, v6
	s_wait_loadcnt 0x0
	v_cmpx_lt_i32_e64 v1, v2
	s_cbranch_execz .LBB0_14
; %bb.7:
	s_delay_alu instid0(VALU_DEP_2)
	v_mad_co_u64_u32 v[7:8], null, s16, v5, 0
	s_mul_u64 s[8:9], s[18:19], s[24:25]
	v_lshlrev_b32_e32 v12, 2, v6
	s_lshl_b64 s[8:9], s[8:9], 2
	s_wait_kmcnt 0x0
	v_subrev_nc_u32_e32 v1, s5, v1
	s_mul_u64 s[6:7], s[6:7], s[24:25]
	v_cmp_gt_i32_e32 vcc_lo, s26, v5
	v_mad_co_u64_u32 v[8:9], null, s17, v5, v[8:9]
	v_lshlrev_b32_e32 v9, 2, v0
	v_subrev_nc_u32_e32 v0, s5, v2
	s_delay_alu instid0(VALU_DEP_2) | instskip(NEXT) | instid1(VALU_DEP_4)
	v_and_b32_e32 v2, 0x3e0, v9
	v_lshlrev_b64_e32 v[10:11], 2, v[7:8]
	s_delay_alu instid0(VALU_DEP_2) | instskip(NEXT) | instid1(VALU_DEP_2)
	v_or_b32_e32 v9, 0x400, v2
	v_add_co_u32 v7, s2, s14, v10
	s_wait_alu 0xf1ff
	s_delay_alu instid0(VALU_DEP_3) | instskip(NEXT) | instid1(VALU_DEP_2)
	v_add_co_ci_u32_e64 v13, null, s15, v11, s2
	v_add_co_u32 v11, s2, v7, s8
	v_mov_b32_e32 v7, 0
	v_or_b32_e32 v8, v2, v12
	v_or_b32_e32 v10, v9, v12
	s_wait_alu 0xf1ff
	v_add_co_ci_u32_e64 v12, null, s9, v13, s2
	s_mov_b32 s8, s25
	s_branch .LBB0_9
.LBB0_8:                                ;   in Loop: Header=BB0_9 Depth=1
	s_wait_alu 0xfffe
	s_or_b32 exec_lo, exec_lo, s9
	v_add_nc_u32_e32 v1, 8, v1
	s_delay_alu instid0(VALU_DEP_1)
	v_cmp_ge_i32_e64 s2, v1, v0
	s_or_b32 s8, s2, s8
	s_wait_alu 0xfffe
	s_and_not1_b32 exec_lo, exec_lo, s8
	s_cbranch_execz .LBB0_13
.LBB0_9:                                ; =>This Inner Loop Header: Depth=1
	v_dual_mov_b32 v14, 0 :: v_dual_add_nc_u32 v13, v6, v1
	v_mov_b32_e32 v15, 0
	s_mov_b32 s9, exec_lo
	s_barrier_signal -1
	s_barrier_wait -1
	global_inv scope:SCOPE_SE
	v_cmpx_lt_i32_e64 v13, v0
	s_cbranch_execz .LBB0_11
; %bb.10:                               ;   in Loop: Header=BB0_9 Depth=1
	v_ashrrev_i32_e32 v14, 31, v13
	v_add_co_u32 v13, s2, s6, v13
	s_wait_alu 0xf1ff
	s_delay_alu instid0(VALU_DEP_2) | instskip(NEXT) | instid1(VALU_DEP_1)
	v_add_co_ci_u32_e64 v14, null, s7, v14, s2
	v_lshlrev_b64_e32 v[13:14], 2, v[13:14]
	s_delay_alu instid0(VALU_DEP_1) | instskip(SKIP_1) | instid1(VALU_DEP_2)
	v_add_co_u32 v15, s2, s10, v13
	s_wait_alu 0xf1ff
	v_add_co_ci_u32_e64 v16, null, s11, v14, s2
	v_add_co_u32 v13, s2, s12, v13
	s_wait_alu 0xf1ff
	v_add_co_ci_u32_e64 v14, null, s13, v14, s2
	global_load_b32 v16, v[15:16], off
	global_load_b32 v15, v[13:14], off
	s_wait_loadcnt 0x1
	v_subrev_nc_u32_e32 v14, s5, v16
.LBB0_11:                               ;   in Loop: Header=BB0_9 Depth=1
	s_wait_alu 0xfffe
	s_or_b32 exec_lo, exec_lo, s9
	ds_store_b32 v8, v14
	s_wait_loadcnt 0x0
	ds_store_b32 v10, v15
	s_wait_dscnt 0x0
	s_barrier_signal -1
	s_barrier_wait -1
	global_inv scope:SCOPE_SE
	s_and_saveexec_b32 s9, vcc_lo
	s_cbranch_execz .LBB0_8
; %bb.12:                               ;   in Loop: Header=BB0_9 Depth=1
	ds_load_b128 v[13:16], v2
	ds_load_b128 v[17:20], v2 offset:16
	s_wait_dscnt 0x1
	v_ashrrev_i32_e32 v22, 31, v13
	v_mov_b32_e32 v21, v13
	v_ashrrev_i32_e32 v24, 31, v14
	v_mov_b32_e32 v23, v14
	v_ashrrev_i32_e32 v14, 31, v15
	v_mov_b32_e32 v13, v15
	v_lshlrev_b64_e32 v[21:22], 2, v[21:22]
	v_ashrrev_i32_e32 v26, 31, v16
	v_mov_b32_e32 v25, v16
	v_lshlrev_b64_e32 v[23:24], 2, v[23:24]
	v_lshlrev_b64_e32 v[13:14], 2, v[13:14]
	s_wait_dscnt 0x0
	v_ashrrev_i32_e32 v16, 31, v17
	v_add_co_u32 v21, s2, v11, v21
	v_lshlrev_b64_e32 v[25:26], 2, v[25:26]
	s_wait_alu 0xf1ff
	v_add_co_ci_u32_e64 v22, null, v12, v22, s2
	v_add_co_u32 v23, s2, v11, v23
	s_wait_alu 0xf1ff
	v_add_co_ci_u32_e64 v24, null, v12, v24, s2
	v_add_co_u32 v13, s2, v11, v13
	;; [unrolled: 3-line block ×3, first 2 shown]
	v_mov_b32_e32 v15, v17
	s_wait_alu 0xf1ff
	v_add_co_ci_u32_e64 v26, null, v12, v26, s2
	v_ashrrev_i32_e32 v28, 31, v18
	v_mov_b32_e32 v27, v18
	s_clause 0x3
	global_load_b32 v22, v[21:22], off
	global_load_b32 v23, v[23:24], off
	;; [unrolled: 1-line block ×4, first 2 shown]
	v_lshlrev_b64_e32 v[15:16], 2, v[15:16]
	v_ashrrev_i32_e32 v18, 31, v19
	v_mov_b32_e32 v17, v19
	v_lshlrev_b64_e32 v[13:14], 2, v[27:28]
	v_ashrrev_i32_e32 v21, 31, v20
	v_add_co_u32 v15, s2, v11, v15
	s_wait_alu 0xf1ff
	v_add_co_ci_u32_e64 v16, null, v12, v16, s2
	s_delay_alu instid0(VALU_DEP_4)
	v_add_co_u32 v13, s2, v11, v13
	s_wait_alu 0xf1ff
	v_add_co_ci_u32_e64 v14, null, v12, v14, s2
	v_lshlrev_b64_e32 v[17:18], 2, v[17:18]
	s_clause 0x1
	global_load_b32 v26, v[15:16], off
	global_load_b32 v27, v[13:14], off
	v_lshlrev_b64_e32 v[13:14], 2, v[20:21]
	v_add_co_u32 v15, s2, v11, v17
	s_wait_alu 0xf1ff
	v_add_co_ci_u32_e64 v16, null, v12, v18, s2
	s_delay_alu instid0(VALU_DEP_3)
	v_add_co_u32 v13, s2, v11, v13
	s_wait_alu 0xf1ff
	v_add_co_ci_u32_e64 v14, null, v12, v14, s2
	s_clause 0x1
	global_load_b32 v21, v[15:16], off
	global_load_b32 v28, v[13:14], off
	ds_load_b128 v[13:16], v9
	ds_load_b128 v[17:20], v9 offset:16
	s_wait_loadcnt_dscnt 0x701
	v_fmac_f32_e32 v7, v13, v22
	s_wait_loadcnt 0x6
	s_delay_alu instid0(VALU_DEP_1) | instskip(SKIP_1) | instid1(VALU_DEP_1)
	v_fmac_f32_e32 v7, v14, v23
	s_wait_loadcnt 0x5
	v_fmac_f32_e32 v7, v15, v24
	s_wait_loadcnt 0x4
	s_delay_alu instid0(VALU_DEP_1) | instskip(SKIP_1) | instid1(VALU_DEP_1)
	v_fmac_f32_e32 v7, v16, v25
	s_wait_loadcnt_dscnt 0x300
	v_fmac_f32_e32 v7, v17, v26
	s_wait_loadcnt 0x2
	s_delay_alu instid0(VALU_DEP_1) | instskip(SKIP_1) | instid1(VALU_DEP_1)
	v_fmac_f32_e32 v7, v18, v27
	s_wait_loadcnt 0x1
	v_fmac_f32_e32 v7, v19, v21
	s_wait_loadcnt 0x0
	s_delay_alu instid0(VALU_DEP_1)
	v_fmac_f32_e32 v7, v20, v28
	s_branch .LBB0_8
.LBB0_13:
	s_or_b32 exec_lo, exec_lo, s8
.LBB0_14:
	s_delay_alu instid0(SALU_CYCLE_1)
	s_or_b32 exec_lo, exec_lo, s3
	v_cmp_gt_i32_e32 vcc_lo, s26, v5
	s_and_b32 exec_lo, exec_lo, vcc_lo
	s_cbranch_execz .LBB0_21
; %bb.15:
	s_clause 0x1
	s_load_b64 s[8:9], s[0:1], 0x70
	s_load_b128 s[0:3], s[0:1], 0x60
	s_wait_kmcnt 0x0
	s_cmp_lg_u32 s4, 1
	v_mul_f32_e32 v0, s20, v7
	s_cselect_b32 s6, -1, 0
	s_cmp_neq_f32 s22, 0
	s_mul_u64 s[4:5], s[8:9], s[24:25]
	s_cbranch_scc0 .LBB0_22
; %bb.16:
	s_wait_alu 0xfffe
	s_and_b32 vcc_lo, exec_lo, s6
	s_mov_b32 s7, -1
	s_cbranch_vccz .LBB0_18
; %bb.17:
	v_mad_co_u64_u32 v[1:2], null, s2, v4, 0
	s_lshl_b64 s[8:9], s[4:5], 2
	s_mov_b32 s7, 0
	v_mad_co_u64_u32 v[6:7], null, s3, v4, v[2:3]
	s_delay_alu instid0(VALU_DEP_1) | instskip(SKIP_1) | instid1(VALU_DEP_2)
	v_mov_b32_e32 v2, v6
	v_lshlrev_b32_e32 v6, 2, v5
	v_lshlrev_b64_e32 v[1:2], 2, v[1:2]
	s_delay_alu instid0(VALU_DEP_1) | instskip(NEXT) | instid1(VALU_DEP_1)
	v_add_co_u32 v1, vcc_lo, s0, v1
	v_add_co_ci_u32_e64 v2, null, s1, v2, vcc_lo
	s_delay_alu instid0(VALU_DEP_2) | instskip(SKIP_1) | instid1(VALU_DEP_2)
	v_add_co_u32 v1, vcc_lo, v1, v6
	s_wait_alu 0xfffd
	v_add_co_ci_u32_e64 v2, null, 0, v2, vcc_lo
	s_wait_alu 0xfffe
	s_delay_alu instid0(VALU_DEP_2) | instskip(SKIP_1) | instid1(VALU_DEP_2)
	v_add_co_u32 v1, vcc_lo, v1, s8
	s_wait_alu 0xfffd
	v_add_co_ci_u32_e64 v2, null, s9, v2, vcc_lo
	global_load_b32 v6, v[1:2], off
	s_wait_loadcnt 0x0
	v_fma_f32 v6, s22, v6, v0
	global_store_b32 v[1:2], v6, off
.LBB0_18:
	s_wait_alu 0xfffe
	s_and_not1_b32 vcc_lo, exec_lo, s7
	s_wait_alu 0xfffe
	s_cbranch_vccnz .LBB0_20
; %bb.19:
	v_mad_co_u64_u32 v[1:2], null, s2, v5, 0
	s_lshl_b64 s[8:9], s[4:5], 2
	v_mad_co_u64_u32 v[6:7], null, s3, v5, v[2:3]
	s_delay_alu instid0(VALU_DEP_1) | instskip(NEXT) | instid1(VALU_DEP_1)
	v_mov_b32_e32 v2, v6
	v_lshlrev_b64_e32 v[1:2], 2, v[1:2]
	s_delay_alu instid0(VALU_DEP_1) | instskip(SKIP_1) | instid1(VALU_DEP_2)
	v_add_co_u32 v1, vcc_lo, s0, v1
	s_wait_alu 0xfffd
	v_add_co_ci_u32_e64 v2, null, s1, v2, vcc_lo
	s_delay_alu instid0(VALU_DEP_2) | instskip(SKIP_1) | instid1(VALU_DEP_2)
	v_add_co_u32 v1, vcc_lo, v1, v3
	s_wait_alu 0xfffd
	v_add_co_ci_u32_e64 v2, null, 0, v2, vcc_lo
	s_wait_alu 0xfffe
	s_delay_alu instid0(VALU_DEP_2) | instskip(SKIP_1) | instid1(VALU_DEP_2)
	v_add_co_u32 v1, vcc_lo, v1, s8
	s_wait_alu 0xfffd
	v_add_co_ci_u32_e64 v2, null, s9, v2, vcc_lo
	global_load_b32 v6, v[1:2], off
	s_wait_loadcnt 0x0
	v_fma_f32 v6, s22, v6, v0
	global_store_b32 v[1:2], v6, off
.LBB0_20:
	s_cbranch_execz .LBB0_23
.LBB0_21:
	s_endpgm
.LBB0_22:
.LBB0_23:
	s_wait_alu 0xfffe
	s_and_b32 vcc_lo, exec_lo, s6
	s_mov_b32 s6, -1
	s_wait_alu 0xfffe
	s_cbranch_vccz .LBB0_25
; %bb.24:
	v_mad_co_u64_u32 v[1:2], null, s2, v4, 0
	s_lshl_b64 s[6:7], s[4:5], 2
	v_mad_co_u64_u32 v[6:7], null, s3, v4, v[2:3]
	v_lshlrev_b32_e32 v4, 2, v5
	s_delay_alu instid0(VALU_DEP_2) | instskip(NEXT) | instid1(VALU_DEP_1)
	v_mov_b32_e32 v2, v6
	v_lshlrev_b64_e32 v[1:2], 2, v[1:2]
	s_delay_alu instid0(VALU_DEP_1) | instskip(SKIP_1) | instid1(VALU_DEP_2)
	v_add_co_u32 v1, vcc_lo, s0, v1
	s_wait_alu 0xfffd
	v_add_co_ci_u32_e64 v2, null, s1, v2, vcc_lo
	s_delay_alu instid0(VALU_DEP_2) | instskip(SKIP_1) | instid1(VALU_DEP_2)
	v_add_co_u32 v1, vcc_lo, v1, v4
	s_wait_alu 0xfffd
	v_add_co_ci_u32_e64 v2, null, 0, v2, vcc_lo
	s_wait_alu 0xfffe
	s_delay_alu instid0(VALU_DEP_2) | instskip(SKIP_1) | instid1(VALU_DEP_2)
	v_add_co_u32 v1, vcc_lo, v1, s6
	s_wait_alu 0xfffd
	v_add_co_ci_u32_e64 v2, null, s7, v2, vcc_lo
	s_mov_b32 s6, 0
	global_store_b32 v[1:2], v0, off
.LBB0_25:
	s_wait_alu 0xfffe
	s_and_not1_b32 vcc_lo, exec_lo, s6
	s_wait_alu 0xfffe
	s_cbranch_vccnz .LBB0_21
; %bb.26:
	v_mad_co_u64_u32 v[1:2], null, s2, v5, 0
	s_delay_alu instid0(VALU_DEP_1) | instskip(NEXT) | instid1(VALU_DEP_1)
	v_mad_co_u64_u32 v[4:5], null, s3, v5, v[2:3]
	v_mov_b32_e32 v2, v4
	s_delay_alu instid0(VALU_DEP_1) | instskip(NEXT) | instid1(VALU_DEP_1)
	v_lshlrev_b64_e32 v[1:2], 2, v[1:2]
	v_add_co_u32 v1, vcc_lo, s0, v1
	s_wait_alu 0xfffd
	s_delay_alu instid0(VALU_DEP_2)
	v_add_co_ci_u32_e64 v2, null, s1, v2, vcc_lo
	s_lshl_b64 s[0:1], s[4:5], 2
	v_add_co_u32 v1, vcc_lo, v1, v3
	s_wait_alu 0xfffd
	v_add_co_ci_u32_e64 v2, null, 0, v2, vcc_lo
	s_wait_alu 0xfffe
	s_delay_alu instid0(VALU_DEP_2) | instskip(SKIP_1) | instid1(VALU_DEP_2)
	v_add_co_u32 v1, vcc_lo, v1, s0
	s_wait_alu 0xfffd
	v_add_co_ci_u32_e64 v2, null, s1, v2, vcc_lo
	global_store_b32 v[1:2], v0, off
	s_endpgm
	.section	.rodata,"a",@progbits
	.p2align	6, 0x0
	.amdhsa_kernel _ZN9rocsparse31csrmmnn_row_split_shared_kernelILj256ELj8EfiifffEEvNS_24const_host_device_scalarIT1_EES3_bbbT3_S4_llPKT2_PKS4_PKT4_PKT5_llPT6_ll16rocsparse_order_21rocsparse_index_base_
		.amdhsa_group_segment_fixed_size 2048
		.amdhsa_private_segment_fixed_size 0
		.amdhsa_kernarg_size 128
		.amdhsa_user_sgpr_count 2
		.amdhsa_user_sgpr_dispatch_ptr 0
		.amdhsa_user_sgpr_queue_ptr 0
		.amdhsa_user_sgpr_kernarg_segment_ptr 1
		.amdhsa_user_sgpr_dispatch_id 0
		.amdhsa_user_sgpr_private_segment_size 0
		.amdhsa_wavefront_size32 1
		.amdhsa_uses_dynamic_stack 0
		.amdhsa_enable_private_segment 0
		.amdhsa_system_sgpr_workgroup_id_x 1
		.amdhsa_system_sgpr_workgroup_id_y 1
		.amdhsa_system_sgpr_workgroup_id_z 1
		.amdhsa_system_sgpr_workgroup_info 0
		.amdhsa_system_vgpr_workitem_id 0
		.amdhsa_next_free_vgpr 29
		.amdhsa_next_free_sgpr 27
		.amdhsa_reserve_vcc 1
		.amdhsa_float_round_mode_32 0
		.amdhsa_float_round_mode_16_64 0
		.amdhsa_float_denorm_mode_32 3
		.amdhsa_float_denorm_mode_16_64 3
		.amdhsa_fp16_overflow 0
		.amdhsa_workgroup_processor_mode 1
		.amdhsa_memory_ordered 1
		.amdhsa_forward_progress 1
		.amdhsa_inst_pref_size 15
		.amdhsa_round_robin_scheduling 0
		.amdhsa_exception_fp_ieee_invalid_op 0
		.amdhsa_exception_fp_denorm_src 0
		.amdhsa_exception_fp_ieee_div_zero 0
		.amdhsa_exception_fp_ieee_overflow 0
		.amdhsa_exception_fp_ieee_underflow 0
		.amdhsa_exception_fp_ieee_inexact 0
		.amdhsa_exception_int_div_zero 0
	.end_amdhsa_kernel
	.section	.text._ZN9rocsparse31csrmmnn_row_split_shared_kernelILj256ELj8EfiifffEEvNS_24const_host_device_scalarIT1_EES3_bbbT3_S4_llPKT2_PKS4_PKT4_PKT5_llPT6_ll16rocsparse_order_21rocsparse_index_base_,"axG",@progbits,_ZN9rocsparse31csrmmnn_row_split_shared_kernelILj256ELj8EfiifffEEvNS_24const_host_device_scalarIT1_EES3_bbbT3_S4_llPKT2_PKS4_PKT4_PKT5_llPT6_ll16rocsparse_order_21rocsparse_index_base_,comdat
.Lfunc_end0:
	.size	_ZN9rocsparse31csrmmnn_row_split_shared_kernelILj256ELj8EfiifffEEvNS_24const_host_device_scalarIT1_EES3_bbbT3_S4_llPKT2_PKS4_PKT4_PKT5_llPT6_ll16rocsparse_order_21rocsparse_index_base_, .Lfunc_end0-_ZN9rocsparse31csrmmnn_row_split_shared_kernelILj256ELj8EfiifffEEvNS_24const_host_device_scalarIT1_EES3_bbbT3_S4_llPKT2_PKS4_PKT4_PKT5_llPT6_ll16rocsparse_order_21rocsparse_index_base_
                                        ; -- End function
	.set _ZN9rocsparse31csrmmnn_row_split_shared_kernelILj256ELj8EfiifffEEvNS_24const_host_device_scalarIT1_EES3_bbbT3_S4_llPKT2_PKS4_PKT4_PKT5_llPT6_ll16rocsparse_order_21rocsparse_index_base_.num_vgpr, 29
	.set _ZN9rocsparse31csrmmnn_row_split_shared_kernelILj256ELj8EfiifffEEvNS_24const_host_device_scalarIT1_EES3_bbbT3_S4_llPKT2_PKS4_PKT4_PKT5_llPT6_ll16rocsparse_order_21rocsparse_index_base_.num_agpr, 0
	.set _ZN9rocsparse31csrmmnn_row_split_shared_kernelILj256ELj8EfiifffEEvNS_24const_host_device_scalarIT1_EES3_bbbT3_S4_llPKT2_PKS4_PKT4_PKT5_llPT6_ll16rocsparse_order_21rocsparse_index_base_.numbered_sgpr, 27
	.set _ZN9rocsparse31csrmmnn_row_split_shared_kernelILj256ELj8EfiifffEEvNS_24const_host_device_scalarIT1_EES3_bbbT3_S4_llPKT2_PKS4_PKT4_PKT5_llPT6_ll16rocsparse_order_21rocsparse_index_base_.num_named_barrier, 0
	.set _ZN9rocsparse31csrmmnn_row_split_shared_kernelILj256ELj8EfiifffEEvNS_24const_host_device_scalarIT1_EES3_bbbT3_S4_llPKT2_PKS4_PKT4_PKT5_llPT6_ll16rocsparse_order_21rocsparse_index_base_.private_seg_size, 0
	.set _ZN9rocsparse31csrmmnn_row_split_shared_kernelILj256ELj8EfiifffEEvNS_24const_host_device_scalarIT1_EES3_bbbT3_S4_llPKT2_PKS4_PKT4_PKT5_llPT6_ll16rocsparse_order_21rocsparse_index_base_.uses_vcc, 1
	.set _ZN9rocsparse31csrmmnn_row_split_shared_kernelILj256ELj8EfiifffEEvNS_24const_host_device_scalarIT1_EES3_bbbT3_S4_llPKT2_PKS4_PKT4_PKT5_llPT6_ll16rocsparse_order_21rocsparse_index_base_.uses_flat_scratch, 0
	.set _ZN9rocsparse31csrmmnn_row_split_shared_kernelILj256ELj8EfiifffEEvNS_24const_host_device_scalarIT1_EES3_bbbT3_S4_llPKT2_PKS4_PKT4_PKT5_llPT6_ll16rocsparse_order_21rocsparse_index_base_.has_dyn_sized_stack, 0
	.set _ZN9rocsparse31csrmmnn_row_split_shared_kernelILj256ELj8EfiifffEEvNS_24const_host_device_scalarIT1_EES3_bbbT3_S4_llPKT2_PKS4_PKT4_PKT5_llPT6_ll16rocsparse_order_21rocsparse_index_base_.has_recursion, 0
	.set _ZN9rocsparse31csrmmnn_row_split_shared_kernelILj256ELj8EfiifffEEvNS_24const_host_device_scalarIT1_EES3_bbbT3_S4_llPKT2_PKS4_PKT4_PKT5_llPT6_ll16rocsparse_order_21rocsparse_index_base_.has_indirect_call, 0
	.section	.AMDGPU.csdata,"",@progbits
; Kernel info:
; codeLenInByte = 1836
; TotalNumSgprs: 29
; NumVgprs: 29
; ScratchSize: 0
; MemoryBound: 0
; FloatMode: 240
; IeeeMode: 1
; LDSByteSize: 2048 bytes/workgroup (compile time only)
; SGPRBlocks: 0
; VGPRBlocks: 3
; NumSGPRsForWavesPerEU: 29
; NumVGPRsForWavesPerEU: 29
; Occupancy: 16
; WaveLimiterHint : 1
; COMPUTE_PGM_RSRC2:SCRATCH_EN: 0
; COMPUTE_PGM_RSRC2:USER_SGPR: 2
; COMPUTE_PGM_RSRC2:TRAP_HANDLER: 0
; COMPUTE_PGM_RSRC2:TGID_X_EN: 1
; COMPUTE_PGM_RSRC2:TGID_Y_EN: 1
; COMPUTE_PGM_RSRC2:TGID_Z_EN: 1
; COMPUTE_PGM_RSRC2:TIDIG_COMP_CNT: 0
	.section	.text._ZN9rocsparse31csrmmnn_row_split_shared_kernelILj256ELj8EflifffEEvNS_24const_host_device_scalarIT1_EES3_bbbT3_S4_llPKT2_PKS4_PKT4_PKT5_llPT6_ll16rocsparse_order_21rocsparse_index_base_,"axG",@progbits,_ZN9rocsparse31csrmmnn_row_split_shared_kernelILj256ELj8EflifffEEvNS_24const_host_device_scalarIT1_EES3_bbbT3_S4_llPKT2_PKS4_PKT4_PKT5_llPT6_ll16rocsparse_order_21rocsparse_index_base_,comdat
	.protected	_ZN9rocsparse31csrmmnn_row_split_shared_kernelILj256ELj8EflifffEEvNS_24const_host_device_scalarIT1_EES3_bbbT3_S4_llPKT2_PKS4_PKT4_PKT5_llPT6_ll16rocsparse_order_21rocsparse_index_base_ ; -- Begin function _ZN9rocsparse31csrmmnn_row_split_shared_kernelILj256ELj8EflifffEEvNS_24const_host_device_scalarIT1_EES3_bbbT3_S4_llPKT2_PKS4_PKT4_PKT5_llPT6_ll16rocsparse_order_21rocsparse_index_base_
	.globl	_ZN9rocsparse31csrmmnn_row_split_shared_kernelILj256ELj8EflifffEEvNS_24const_host_device_scalarIT1_EES3_bbbT3_S4_llPKT2_PKS4_PKT4_PKT5_llPT6_ll16rocsparse_order_21rocsparse_index_base_
	.p2align	8
	.type	_ZN9rocsparse31csrmmnn_row_split_shared_kernelILj256ELj8EflifffEEvNS_24const_host_device_scalarIT1_EES3_bbbT3_S4_llPKT2_PKS4_PKT4_PKT5_llPT6_ll16rocsparse_order_21rocsparse_index_base_,@function
_ZN9rocsparse31csrmmnn_row_split_shared_kernelILj256ELj8EflifffEEvNS_24const_host_device_scalarIT1_EES3_bbbT3_S4_llPKT2_PKS4_PKT4_PKT5_llPT6_ll16rocsparse_order_21rocsparse_index_base_: ; @_ZN9rocsparse31csrmmnn_row_split_shared_kernelILj256ELj8EflifffEEvNS_24const_host_device_scalarIT1_EES3_bbbT3_S4_llPKT2_PKS4_PKT4_PKT5_llPT6_ll16rocsparse_order_21rocsparse_index_base_
; %bb.0:
	s_clause 0x1
	s_load_b96 s[24:26], s[0:1], 0x10
	s_load_b128 s[20:23], s[0:1], 0x0
	s_wait_kmcnt 0x0
	s_bitcmp1_b32 s24, 0
	s_cselect_b32 s2, -1, 0
	s_delay_alu instid0(SALU_CYCLE_1)
	s_and_b32 vcc_lo, exec_lo, s2
	s_xor_b32 s2, s2, -1
	s_cbranch_vccnz .LBB1_2
; %bb.1:
	s_load_b32 s20, s[20:21], 0x0
.LBB1_2:
	s_and_not1_b32 vcc_lo, exec_lo, s2
	s_cbranch_vccnz .LBB1_4
; %bb.3:
	s_load_b32 s22, s[22:23], 0x0
.LBB1_4:
	s_wait_kmcnt 0x0
	s_cmp_eq_f32 s20, 0
	s_cselect_b32 s2, -1, 0
	s_cmp_eq_f32 s22, 1.0
	s_cselect_b32 s3, -1, 0
	s_delay_alu instid0(SALU_CYCLE_1) | instskip(NEXT) | instid1(SALU_CYCLE_1)
	s_and_b32 s2, s2, s3
	s_and_b32 vcc_lo, exec_lo, s2
	s_cbranch_vccnz .LBB1_21
; %bb.5:
	v_lshl_or_b32 v1, ttmp9, 8, v0
	s_mov_b32 s2, exec_lo
	s_delay_alu instid0(VALU_DEP_1) | instskip(NEXT) | instid1(VALU_DEP_1)
	v_lshrrev_b32_e32 v9, 3, v1
	v_cmpx_gt_i32_e64 s25, v9
	s_cbranch_execz .LBB1_21
; %bb.6:
	s_load_b512 s[4:19], s[0:1], 0x20
	s_mov_b32 s25, 0
	s_lshr_b32 s24, ttmp7, 16
	v_dual_mov_b32 v12, 0 :: v_dual_lshlrev_b32 v1, 3, v9
	v_and_b32_e32 v11, 7, v0
	s_wait_kmcnt 0x0
	s_wait_alu 0xfffe
	s_mul_u64 s[2:3], s[4:5], s[24:25]
	s_load_b64 s[4:5], s[0:1], 0x78
	s_lshl_b64 s[2:3], s[2:3], 3
	s_delay_alu instid0(SALU_CYCLE_1) | instskip(SKIP_3) | instid1(SALU_CYCLE_1)
	s_add_nc_u64 s[2:3], s[8:9], s[2:3]
	s_mov_b32 s8, exec_lo
	global_load_b128 v[1:4], v1, s[2:3]
	s_and_b32 s2, ttmp7, 0xffff
	v_lshl_or_b32 v10, s2, 3, v11
	s_wait_loadcnt 0x0
	v_cmpx_lt_i64_e64 v[1:2], v[3:4]
	s_cbranch_execz .LBB1_14
; %bb.7:
	s_delay_alu instid0(VALU_DEP_2) | instskip(SKIP_4) | instid1(VALU_DEP_1)
	v_mad_co_u64_u32 v[5:6], null, s16, v10, 0
	v_mad_co_u64_u32 v[7:8], null, s6, s24, v[1:2]
	v_lshlrev_b32_e32 v12, 2, v0
	s_wait_kmcnt 0x0
	v_sub_co_u32 v3, vcc_lo, v3, s5
	v_subrev_co_ci_u32_e64 v4, null, 0, v4, vcc_lo
	s_delay_alu instid0(VALU_DEP_3) | instskip(SKIP_2) | instid1(VALU_DEP_3)
	v_dual_mov_b32 v0, v6 :: v_dual_and_b32 v13, 0x3e0, v12
	v_mad_co_u64_u32 v[16:17], null, s7, s24, v[8:9]
	v_add_co_u32 v7, s2, v7, v11
	v_mad_co_u64_u32 v[14:15], null, s17, v10, v[0:1]
	s_mul_u64 s[6:7], s[18:19], s[24:25]
	v_sub_co_u32 v0, vcc_lo, v1, s5
	v_add_co_ci_u32_e64 v8, null, 0, v16, s2
	v_sub_co_u32 v7, s2, v7, s5
	v_mov_b32_e32 v6, v14
	s_wait_alu 0xf1ff
	s_delay_alu instid0(VALU_DEP_3) | instskip(SKIP_3) | instid1(VALU_DEP_3)
	v_subrev_co_ci_u32_e64 v8, null, 0, v8, s2
	s_wait_alu 0xfffd
	v_subrev_co_ci_u32_e64 v1, null, 0, v2, vcc_lo
	v_lshlrev_b64_e32 v[5:6], 2, v[5:6]
	v_lshlrev_b64_e32 v[7:8], 2, v[7:8]
	v_dual_mov_b32 v12, 0 :: v_dual_lshlrev_b32 v15, 2, v11
	v_or_b32_e32 v2, 0x400, v13
	v_cmp_gt_i32_e32 vcc_lo, s26, v10
	v_add_co_u32 v5, s2, s14, v5
	s_wait_alu 0xf1ff
	v_add_co_ci_u32_e64 v6, null, s15, v6, s2
	s_wait_alu 0xfffe
	s_lshl_b64 s[2:3], s[6:7], 2
	v_or_b32_e32 v14, v13, v15
	s_wait_alu 0xfffe
	v_add_co_u32 v16, s2, v5, s2
	s_wait_alu 0xf1ff
	v_add_co_ci_u32_e64 v17, null, s3, v6, s2
	v_add_co_u32 v5, s2, s10, v7
	s_wait_alu 0xf1ff
	v_add_co_ci_u32_e64 v6, null, s11, v8, s2
	v_add_co_u32 v7, s2, s12, v7
	v_or_b32_e32 v15, v2, v15
	s_wait_alu 0xf1ff
	v_add_co_ci_u32_e64 v8, null, s13, v8, s2
	s_mov_b32 s6, s25
	s_branch .LBB1_9
.LBB1_8:                                ;   in Loop: Header=BB1_9 Depth=1
	s_wait_alu 0xfffe
	s_or_b32 exec_lo, exec_lo, s3
	v_add_co_u32 v0, s2, v0, 8
	s_wait_alu 0xf1ff
	v_add_co_ci_u32_e64 v1, null, 0, v1, s2
	v_add_co_u32 v5, s2, v5, 32
	s_wait_alu 0xf1ff
	v_add_co_ci_u32_e64 v6, null, 0, v6, s2
	s_delay_alu instid0(VALU_DEP_3)
	v_cmp_ge_i64_e64 s2, v[0:1], v[3:4]
	v_add_co_u32 v7, s3, v7, 32
	s_wait_alu 0xf1ff
	v_add_co_ci_u32_e64 v8, null, 0, v8, s3
	s_or_b32 s6, s2, s6
	s_wait_alu 0xfffe
	s_and_not1_b32 exec_lo, exec_lo, s6
	s_cbranch_execz .LBB1_13
.LBB1_9:                                ; =>This Inner Loop Header: Depth=1
	v_add_co_u32 v18, s2, v11, v0
	s_wait_alu 0xf1ff
	v_add_co_ci_u32_e64 v19, null, 0, v1, s2
	s_barrier_signal -1
	s_barrier_wait -1
	s_delay_alu instid0(VALU_DEP_1)
	v_cmp_lt_i64_e64 s2, v[18:19], v[3:4]
	v_dual_mov_b32 v19, 0 :: v_dual_mov_b32 v18, 0
	global_inv scope:SCOPE_SE
	s_and_saveexec_b32 s3, s2
	s_cbranch_execz .LBB1_11
; %bb.10:                               ;   in Loop: Header=BB1_9 Depth=1
	global_load_b32 v19, v[5:6], off
	global_load_b32 v18, v[7:8], off
	s_wait_loadcnt 0x1
	v_subrev_nc_u32_e32 v19, s5, v19
.LBB1_11:                               ;   in Loop: Header=BB1_9 Depth=1
	s_wait_alu 0xfffe
	s_or_b32 exec_lo, exec_lo, s3
	ds_store_b32 v14, v19
	s_wait_loadcnt 0x0
	ds_store_b32 v15, v18
	s_wait_dscnt 0x0
	s_barrier_signal -1
	s_barrier_wait -1
	global_inv scope:SCOPE_SE
	s_and_saveexec_b32 s3, vcc_lo
	s_cbranch_execz .LBB1_8
; %bb.12:                               ;   in Loop: Header=BB1_9 Depth=1
	ds_load_b128 v[18:21], v13
	ds_load_b128 v[22:25], v13 offset:16
	s_wait_dscnt 0x1
	v_ashrrev_i32_e32 v27, 31, v18
	v_mov_b32_e32 v26, v18
	v_ashrrev_i32_e32 v29, 31, v19
	v_mov_b32_e32 v28, v19
	;; [unrolled: 2-line block ×3, first 2 shown]
	v_lshlrev_b64_e32 v[26:27], 2, v[26:27]
	v_ashrrev_i32_e32 v31, 31, v21
	v_mov_b32_e32 v30, v21
	v_lshlrev_b64_e32 v[28:29], 2, v[28:29]
	v_lshlrev_b64_e32 v[18:19], 2, v[18:19]
	s_wait_dscnt 0x0
	v_ashrrev_i32_e32 v21, 31, v22
	v_add_co_u32 v26, s2, v16, v26
	v_lshlrev_b64_e32 v[30:31], 2, v[30:31]
	s_wait_alu 0xf1ff
	v_add_co_ci_u32_e64 v27, null, v17, v27, s2
	v_add_co_u32 v28, s2, v16, v28
	s_wait_alu 0xf1ff
	v_add_co_ci_u32_e64 v29, null, v17, v29, s2
	v_add_co_u32 v18, s2, v16, v18
	;; [unrolled: 3-line block ×3, first 2 shown]
	v_mov_b32_e32 v20, v22
	s_wait_alu 0xf1ff
	v_add_co_ci_u32_e64 v31, null, v17, v31, s2
	v_ashrrev_i32_e32 v33, 31, v23
	v_mov_b32_e32 v32, v23
	s_clause 0x3
	global_load_b32 v27, v[26:27], off
	global_load_b32 v28, v[28:29], off
	;; [unrolled: 1-line block ×4, first 2 shown]
	v_lshlrev_b64_e32 v[20:21], 2, v[20:21]
	v_ashrrev_i32_e32 v23, 31, v24
	v_mov_b32_e32 v22, v24
	v_lshlrev_b64_e32 v[18:19], 2, v[32:33]
	v_ashrrev_i32_e32 v26, 31, v25
	v_add_co_u32 v20, s2, v16, v20
	s_wait_alu 0xf1ff
	v_add_co_ci_u32_e64 v21, null, v17, v21, s2
	s_delay_alu instid0(VALU_DEP_4)
	v_add_co_u32 v18, s2, v16, v18
	s_wait_alu 0xf1ff
	v_add_co_ci_u32_e64 v19, null, v17, v19, s2
	v_lshlrev_b64_e32 v[22:23], 2, v[22:23]
	s_clause 0x1
	global_load_b32 v31, v[20:21], off
	global_load_b32 v32, v[18:19], off
	v_lshlrev_b64_e32 v[18:19], 2, v[25:26]
	v_add_co_u32 v20, s2, v16, v22
	s_wait_alu 0xf1ff
	v_add_co_ci_u32_e64 v21, null, v17, v23, s2
	s_delay_alu instid0(VALU_DEP_3)
	v_add_co_u32 v18, s2, v16, v18
	s_wait_alu 0xf1ff
	v_add_co_ci_u32_e64 v19, null, v17, v19, s2
	s_clause 0x1
	global_load_b32 v26, v[20:21], off
	global_load_b32 v33, v[18:19], off
	ds_load_b128 v[18:21], v2
	ds_load_b128 v[22:25], v2 offset:16
	s_wait_loadcnt_dscnt 0x701
	v_fmac_f32_e32 v12, v18, v27
	s_wait_loadcnt 0x6
	s_delay_alu instid0(VALU_DEP_1) | instskip(SKIP_1) | instid1(VALU_DEP_1)
	v_fmac_f32_e32 v12, v19, v28
	s_wait_loadcnt 0x5
	v_fmac_f32_e32 v12, v20, v29
	s_wait_loadcnt 0x4
	s_delay_alu instid0(VALU_DEP_1) | instskip(SKIP_1) | instid1(VALU_DEP_1)
	v_fmac_f32_e32 v12, v21, v30
	s_wait_loadcnt_dscnt 0x300
	v_fmac_f32_e32 v12, v22, v31
	s_wait_loadcnt 0x2
	s_delay_alu instid0(VALU_DEP_1) | instskip(SKIP_1) | instid1(VALU_DEP_1)
	v_fmac_f32_e32 v12, v23, v32
	s_wait_loadcnt 0x1
	v_fmac_f32_e32 v12, v24, v26
	s_wait_loadcnt 0x0
	s_delay_alu instid0(VALU_DEP_1)
	v_fmac_f32_e32 v12, v25, v33
	s_branch .LBB1_8
.LBB1_13:
	s_or_b32 exec_lo, exec_lo, s6
.LBB1_14:
	s_delay_alu instid0(SALU_CYCLE_1)
	s_or_b32 exec_lo, exec_lo, s8
	v_cmp_gt_i32_e32 vcc_lo, s26, v10
	s_and_b32 exec_lo, exec_lo, vcc_lo
	s_cbranch_execz .LBB1_21
; %bb.15:
	s_clause 0x1
	s_load_b64 s[8:9], s[0:1], 0x70
	s_load_b128 s[0:3], s[0:1], 0x60
	s_wait_kmcnt 0x0
	s_cmp_lg_u32 s4, 1
	v_mul_f32_e32 v0, s20, v12
	s_cselect_b32 s6, -1, 0
	s_cmp_neq_f32 s22, 0
	s_mul_u64 s[4:5], s[8:9], s[24:25]
	s_cbranch_scc0 .LBB1_22
; %bb.16:
	s_wait_alu 0xfffe
	s_and_b32 vcc_lo, exec_lo, s6
	s_mov_b32 s7, -1
	s_wait_alu 0xfffe
	s_cbranch_vccz .LBB1_18
; %bb.17:
	v_mad_co_u64_u32 v[1:2], null, s2, v9, 0
	s_lshl_b64 s[8:9], s[4:5], 2
	s_mov_b32 s7, 0
	v_mad_co_u64_u32 v[2:3], null, s3, v9, v[2:3]
	v_lshlrev_b32_e32 v3, 2, v10
	s_delay_alu instid0(VALU_DEP_2) | instskip(NEXT) | instid1(VALU_DEP_1)
	v_lshlrev_b64_e32 v[1:2], 2, v[1:2]
	v_add_co_u32 v1, vcc_lo, s0, v1
	s_wait_alu 0xfffd
	s_delay_alu instid0(VALU_DEP_2) | instskip(NEXT) | instid1(VALU_DEP_2)
	v_add_co_ci_u32_e64 v2, null, s1, v2, vcc_lo
	v_add_co_u32 v1, vcc_lo, v1, v3
	s_wait_alu 0xfffd
	s_delay_alu instid0(VALU_DEP_2) | instskip(NEXT) | instid1(VALU_DEP_2)
	v_add_co_ci_u32_e64 v2, null, 0, v2, vcc_lo
	v_add_co_u32 v1, vcc_lo, v1, s8
	s_wait_alu 0xfffd
	s_delay_alu instid0(VALU_DEP_2)
	v_add_co_ci_u32_e64 v2, null, s9, v2, vcc_lo
	global_load_b32 v3, v[1:2], off
	s_wait_loadcnt 0x0
	v_fma_f32 v3, s22, v3, v0
	global_store_b32 v[1:2], v3, off
.LBB1_18:
	s_wait_alu 0xfffe
	s_and_not1_b32 vcc_lo, exec_lo, s7
	s_wait_alu 0xfffe
	s_cbranch_vccnz .LBB1_20
; %bb.19:
	v_mad_co_u64_u32 v[1:2], null, s2, v10, 0
	s_lshl_b64 s[8:9], s[4:5], 2
	v_mad_co_u64_u32 v[2:3], null, s3, v10, v[2:3]
	v_lshlrev_b32_e32 v3, 2, v9
	s_delay_alu instid0(VALU_DEP_2) | instskip(NEXT) | instid1(VALU_DEP_1)
	v_lshlrev_b64_e32 v[1:2], 2, v[1:2]
	v_add_co_u32 v1, vcc_lo, s0, v1
	s_wait_alu 0xfffd
	s_delay_alu instid0(VALU_DEP_2) | instskip(NEXT) | instid1(VALU_DEP_2)
	v_add_co_ci_u32_e64 v2, null, s1, v2, vcc_lo
	v_add_co_u32 v1, vcc_lo, v1, v3
	s_wait_alu 0xfffd
	s_delay_alu instid0(VALU_DEP_2) | instskip(SKIP_1) | instid1(VALU_DEP_2)
	v_add_co_ci_u32_e64 v2, null, 0, v2, vcc_lo
	s_wait_alu 0xfffe
	v_add_co_u32 v1, vcc_lo, v1, s8
	s_wait_alu 0xfffd
	s_delay_alu instid0(VALU_DEP_2)
	v_add_co_ci_u32_e64 v2, null, s9, v2, vcc_lo
	global_load_b32 v3, v[1:2], off
	s_wait_loadcnt 0x0
	v_fma_f32 v3, s22, v3, v0
	global_store_b32 v[1:2], v3, off
.LBB1_20:
	s_cbranch_execz .LBB1_23
.LBB1_21:
	s_endpgm
.LBB1_22:
.LBB1_23:
	s_wait_alu 0xfffe
	s_and_b32 vcc_lo, exec_lo, s6
	s_mov_b32 s6, -1
	s_wait_alu 0xfffe
	s_cbranch_vccz .LBB1_25
; %bb.24:
	v_mad_co_u64_u32 v[1:2], null, s2, v9, 0
	s_lshl_b64 s[6:7], s[4:5], 2
	v_mad_co_u64_u32 v[2:3], null, s3, v9, v[2:3]
	v_lshlrev_b32_e32 v3, 2, v10
	s_delay_alu instid0(VALU_DEP_2) | instskip(NEXT) | instid1(VALU_DEP_1)
	v_lshlrev_b64_e32 v[1:2], 2, v[1:2]
	v_add_co_u32 v1, vcc_lo, s0, v1
	s_wait_alu 0xfffd
	s_delay_alu instid0(VALU_DEP_2) | instskip(NEXT) | instid1(VALU_DEP_2)
	v_add_co_ci_u32_e64 v2, null, s1, v2, vcc_lo
	v_add_co_u32 v1, vcc_lo, v1, v3
	s_wait_alu 0xfffd
	s_delay_alu instid0(VALU_DEP_2) | instskip(SKIP_1) | instid1(VALU_DEP_2)
	v_add_co_ci_u32_e64 v2, null, 0, v2, vcc_lo
	s_wait_alu 0xfffe
	v_add_co_u32 v1, vcc_lo, v1, s6
	s_wait_alu 0xfffd
	s_delay_alu instid0(VALU_DEP_2)
	v_add_co_ci_u32_e64 v2, null, s7, v2, vcc_lo
	s_mov_b32 s6, 0
	global_store_b32 v[1:2], v0, off
.LBB1_25:
	s_wait_alu 0xfffe
	s_and_not1_b32 vcc_lo, exec_lo, s6
	s_wait_alu 0xfffe
	s_cbranch_vccnz .LBB1_21
; %bb.26:
	v_mad_co_u64_u32 v[1:2], null, s2, v10, 0
	s_delay_alu instid0(VALU_DEP_1) | instskip(SKIP_1) | instid1(VALU_DEP_2)
	v_mad_co_u64_u32 v[2:3], null, s3, v10, v[2:3]
	v_lshlrev_b32_e32 v3, 2, v9
	v_lshlrev_b64_e32 v[1:2], 2, v[1:2]
	s_delay_alu instid0(VALU_DEP_1) | instskip(SKIP_1) | instid1(VALU_DEP_2)
	v_add_co_u32 v1, vcc_lo, s0, v1
	s_wait_alu 0xfffd
	v_add_co_ci_u32_e64 v2, null, s1, v2, vcc_lo
	s_lshl_b64 s[0:1], s[4:5], 2
	v_add_co_u32 v1, vcc_lo, v1, v3
	s_wait_alu 0xfffd
	v_add_co_ci_u32_e64 v2, null, 0, v2, vcc_lo
	s_wait_alu 0xfffe
	s_delay_alu instid0(VALU_DEP_2) | instskip(SKIP_1) | instid1(VALU_DEP_2)
	v_add_co_u32 v1, vcc_lo, v1, s0
	s_wait_alu 0xfffd
	v_add_co_ci_u32_e64 v2, null, s1, v2, vcc_lo
	global_store_b32 v[1:2], v0, off
	s_endpgm
	.section	.rodata,"a",@progbits
	.p2align	6, 0x0
	.amdhsa_kernel _ZN9rocsparse31csrmmnn_row_split_shared_kernelILj256ELj8EflifffEEvNS_24const_host_device_scalarIT1_EES3_bbbT3_S4_llPKT2_PKS4_PKT4_PKT5_llPT6_ll16rocsparse_order_21rocsparse_index_base_
		.amdhsa_group_segment_fixed_size 2048
		.amdhsa_private_segment_fixed_size 0
		.amdhsa_kernarg_size 128
		.amdhsa_user_sgpr_count 2
		.amdhsa_user_sgpr_dispatch_ptr 0
		.amdhsa_user_sgpr_queue_ptr 0
		.amdhsa_user_sgpr_kernarg_segment_ptr 1
		.amdhsa_user_sgpr_dispatch_id 0
		.amdhsa_user_sgpr_private_segment_size 0
		.amdhsa_wavefront_size32 1
		.amdhsa_uses_dynamic_stack 0
		.amdhsa_enable_private_segment 0
		.amdhsa_system_sgpr_workgroup_id_x 1
		.amdhsa_system_sgpr_workgroup_id_y 1
		.amdhsa_system_sgpr_workgroup_id_z 1
		.amdhsa_system_sgpr_workgroup_info 0
		.amdhsa_system_vgpr_workitem_id 0
		.amdhsa_next_free_vgpr 34
		.amdhsa_next_free_sgpr 27
		.amdhsa_reserve_vcc 1
		.amdhsa_float_round_mode_32 0
		.amdhsa_float_round_mode_16_64 0
		.amdhsa_float_denorm_mode_32 3
		.amdhsa_float_denorm_mode_16_64 3
		.amdhsa_fp16_overflow 0
		.amdhsa_workgroup_processor_mode 1
		.amdhsa_memory_ordered 1
		.amdhsa_forward_progress 1
		.amdhsa_inst_pref_size 16
		.amdhsa_round_robin_scheduling 0
		.amdhsa_exception_fp_ieee_invalid_op 0
		.amdhsa_exception_fp_denorm_src 0
		.amdhsa_exception_fp_ieee_div_zero 0
		.amdhsa_exception_fp_ieee_overflow 0
		.amdhsa_exception_fp_ieee_underflow 0
		.amdhsa_exception_fp_ieee_inexact 0
		.amdhsa_exception_int_div_zero 0
	.end_amdhsa_kernel
	.section	.text._ZN9rocsparse31csrmmnn_row_split_shared_kernelILj256ELj8EflifffEEvNS_24const_host_device_scalarIT1_EES3_bbbT3_S4_llPKT2_PKS4_PKT4_PKT5_llPT6_ll16rocsparse_order_21rocsparse_index_base_,"axG",@progbits,_ZN9rocsparse31csrmmnn_row_split_shared_kernelILj256ELj8EflifffEEvNS_24const_host_device_scalarIT1_EES3_bbbT3_S4_llPKT2_PKS4_PKT4_PKT5_llPT6_ll16rocsparse_order_21rocsparse_index_base_,comdat
.Lfunc_end1:
	.size	_ZN9rocsparse31csrmmnn_row_split_shared_kernelILj256ELj8EflifffEEvNS_24const_host_device_scalarIT1_EES3_bbbT3_S4_llPKT2_PKS4_PKT4_PKT5_llPT6_ll16rocsparse_order_21rocsparse_index_base_, .Lfunc_end1-_ZN9rocsparse31csrmmnn_row_split_shared_kernelILj256ELj8EflifffEEvNS_24const_host_device_scalarIT1_EES3_bbbT3_S4_llPKT2_PKS4_PKT4_PKT5_llPT6_ll16rocsparse_order_21rocsparse_index_base_
                                        ; -- End function
	.set _ZN9rocsparse31csrmmnn_row_split_shared_kernelILj256ELj8EflifffEEvNS_24const_host_device_scalarIT1_EES3_bbbT3_S4_llPKT2_PKS4_PKT4_PKT5_llPT6_ll16rocsparse_order_21rocsparse_index_base_.num_vgpr, 34
	.set _ZN9rocsparse31csrmmnn_row_split_shared_kernelILj256ELj8EflifffEEvNS_24const_host_device_scalarIT1_EES3_bbbT3_S4_llPKT2_PKS4_PKT4_PKT5_llPT6_ll16rocsparse_order_21rocsparse_index_base_.num_agpr, 0
	.set _ZN9rocsparse31csrmmnn_row_split_shared_kernelILj256ELj8EflifffEEvNS_24const_host_device_scalarIT1_EES3_bbbT3_S4_llPKT2_PKS4_PKT4_PKT5_llPT6_ll16rocsparse_order_21rocsparse_index_base_.numbered_sgpr, 27
	.set _ZN9rocsparse31csrmmnn_row_split_shared_kernelILj256ELj8EflifffEEvNS_24const_host_device_scalarIT1_EES3_bbbT3_S4_llPKT2_PKS4_PKT4_PKT5_llPT6_ll16rocsparse_order_21rocsparse_index_base_.num_named_barrier, 0
	.set _ZN9rocsparse31csrmmnn_row_split_shared_kernelILj256ELj8EflifffEEvNS_24const_host_device_scalarIT1_EES3_bbbT3_S4_llPKT2_PKS4_PKT4_PKT5_llPT6_ll16rocsparse_order_21rocsparse_index_base_.private_seg_size, 0
	.set _ZN9rocsparse31csrmmnn_row_split_shared_kernelILj256ELj8EflifffEEvNS_24const_host_device_scalarIT1_EES3_bbbT3_S4_llPKT2_PKS4_PKT4_PKT5_llPT6_ll16rocsparse_order_21rocsparse_index_base_.uses_vcc, 1
	.set _ZN9rocsparse31csrmmnn_row_split_shared_kernelILj256ELj8EflifffEEvNS_24const_host_device_scalarIT1_EES3_bbbT3_S4_llPKT2_PKS4_PKT4_PKT5_llPT6_ll16rocsparse_order_21rocsparse_index_base_.uses_flat_scratch, 0
	.set _ZN9rocsparse31csrmmnn_row_split_shared_kernelILj256ELj8EflifffEEvNS_24const_host_device_scalarIT1_EES3_bbbT3_S4_llPKT2_PKS4_PKT4_PKT5_llPT6_ll16rocsparse_order_21rocsparse_index_base_.has_dyn_sized_stack, 0
	.set _ZN9rocsparse31csrmmnn_row_split_shared_kernelILj256ELj8EflifffEEvNS_24const_host_device_scalarIT1_EES3_bbbT3_S4_llPKT2_PKS4_PKT4_PKT5_llPT6_ll16rocsparse_order_21rocsparse_index_base_.has_recursion, 0
	.set _ZN9rocsparse31csrmmnn_row_split_shared_kernelILj256ELj8EflifffEEvNS_24const_host_device_scalarIT1_EES3_bbbT3_S4_llPKT2_PKS4_PKT4_PKT5_llPT6_ll16rocsparse_order_21rocsparse_index_base_.has_indirect_call, 0
	.section	.AMDGPU.csdata,"",@progbits
; Kernel info:
; codeLenInByte = 1960
; TotalNumSgprs: 29
; NumVgprs: 34
; ScratchSize: 0
; MemoryBound: 0
; FloatMode: 240
; IeeeMode: 1
; LDSByteSize: 2048 bytes/workgroup (compile time only)
; SGPRBlocks: 0
; VGPRBlocks: 4
; NumSGPRsForWavesPerEU: 29
; NumVGPRsForWavesPerEU: 34
; Occupancy: 16
; WaveLimiterHint : 1
; COMPUTE_PGM_RSRC2:SCRATCH_EN: 0
; COMPUTE_PGM_RSRC2:USER_SGPR: 2
; COMPUTE_PGM_RSRC2:TRAP_HANDLER: 0
; COMPUTE_PGM_RSRC2:TGID_X_EN: 1
; COMPUTE_PGM_RSRC2:TGID_Y_EN: 1
; COMPUTE_PGM_RSRC2:TGID_Z_EN: 1
; COMPUTE_PGM_RSRC2:TIDIG_COMP_CNT: 0
	.section	.text._ZN9rocsparse31csrmmnn_row_split_shared_kernelILj256ELj8EfllfffEEvNS_24const_host_device_scalarIT1_EES3_bbbT3_S4_llPKT2_PKS4_PKT4_PKT5_llPT6_ll16rocsparse_order_21rocsparse_index_base_,"axG",@progbits,_ZN9rocsparse31csrmmnn_row_split_shared_kernelILj256ELj8EfllfffEEvNS_24const_host_device_scalarIT1_EES3_bbbT3_S4_llPKT2_PKS4_PKT4_PKT5_llPT6_ll16rocsparse_order_21rocsparse_index_base_,comdat
	.protected	_ZN9rocsparse31csrmmnn_row_split_shared_kernelILj256ELj8EfllfffEEvNS_24const_host_device_scalarIT1_EES3_bbbT3_S4_llPKT2_PKS4_PKT4_PKT5_llPT6_ll16rocsparse_order_21rocsparse_index_base_ ; -- Begin function _ZN9rocsparse31csrmmnn_row_split_shared_kernelILj256ELj8EfllfffEEvNS_24const_host_device_scalarIT1_EES3_bbbT3_S4_llPKT2_PKS4_PKT4_PKT5_llPT6_ll16rocsparse_order_21rocsparse_index_base_
	.globl	_ZN9rocsparse31csrmmnn_row_split_shared_kernelILj256ELj8EfllfffEEvNS_24const_host_device_scalarIT1_EES3_bbbT3_S4_llPKT2_PKS4_PKT4_PKT5_llPT6_ll16rocsparse_order_21rocsparse_index_base_
	.p2align	8
	.type	_ZN9rocsparse31csrmmnn_row_split_shared_kernelILj256ELj8EfllfffEEvNS_24const_host_device_scalarIT1_EES3_bbbT3_S4_llPKT2_PKS4_PKT4_PKT5_llPT6_ll16rocsparse_order_21rocsparse_index_base_,@function
_ZN9rocsparse31csrmmnn_row_split_shared_kernelILj256ELj8EfllfffEEvNS_24const_host_device_scalarIT1_EES3_bbbT3_S4_llPKT2_PKS4_PKT4_PKT5_llPT6_ll16rocsparse_order_21rocsparse_index_base_: ; @_ZN9rocsparse31csrmmnn_row_split_shared_kernelILj256ELj8EfllfffEEvNS_24const_host_device_scalarIT1_EES3_bbbT3_S4_llPKT2_PKS4_PKT4_PKT5_llPT6_ll16rocsparse_order_21rocsparse_index_base_
; %bb.0:
	s_clause 0x1
	s_load_b32 s2, s[0:1], 0x10
	s_load_b128 s[28:31], s[0:1], 0x0
	s_wait_kmcnt 0x0
	s_bitcmp1_b32 s2, 0
	s_cselect_b32 s2, -1, 0
	s_delay_alu instid0(SALU_CYCLE_1)
	s_and_b32 vcc_lo, exec_lo, s2
	s_xor_b32 s2, s2, -1
	s_cbranch_vccnz .LBB2_2
; %bb.1:
	s_load_b32 s28, s[28:29], 0x0
.LBB2_2:
	s_and_not1_b32 vcc_lo, exec_lo, s2
	s_cbranch_vccnz .LBB2_4
; %bb.3:
	s_load_b32 s30, s[30:31], 0x0
.LBB2_4:
	s_wait_kmcnt 0x0
	s_cmp_eq_f32 s28, 0
	s_cselect_b32 s2, -1, 0
	s_cmp_eq_f32 s30, 1.0
	s_cselect_b32 s3, -1, 0
	s_delay_alu instid0(SALU_CYCLE_1) | instskip(NEXT) | instid1(SALU_CYCLE_1)
	s_and_b32 s2, s2, s3
	s_and_b32 vcc_lo, exec_lo, s2
	s_cbranch_vccnz .LBB2_21
; %bb.5:
	s_load_b512 s[4:19], s[0:1], 0x18
	v_lshl_or_b32 v1, ttmp9, 8, v0
	v_mov_b32_e32 v6, 0
	s_mov_b32 s2, exec_lo
	s_delay_alu instid0(VALU_DEP_2) | instskip(SKIP_1) | instid1(VALU_DEP_1)
	v_lshrrev_b32_e32 v5, 3, v1
	s_wait_kmcnt 0x0
	v_cmpx_gt_i64_e64 s[4:5], v[5:6]
	s_cbranch_execz .LBB2_21
; %bb.6:
	s_mov_b32 s3, 0
	s_lshr_b32 s2, ttmp7, 16
	v_dual_mov_b32 v8, v6 :: v_dual_lshlrev_b32 v1, 3, v5
	s_mul_u64 s[4:5], s[8:9], s[2:3]
	v_and_b32_e32 v15, 7, v0
	s_wait_alu 0xfffe
	s_lshl_b64 s[4:5], s[4:5], 3
	s_wait_alu 0xfffe
	s_add_nc_u64 s[4:5], s[12:13], s[4:5]
	global_load_b128 v[1:4], v1, s[4:5]
	s_clause 0x1
	s_load_b256 s[20:27], s[0:1], 0x58
	s_load_b128 s[36:39], s[0:1], 0x78
	s_and_b32 s0, ttmp7, 0xffff
	s_mov_b32 s4, exec_lo
	s_wait_alu 0xfffe
	v_lshl_or_b32 v7, s0, 3, v15
	s_wait_loadcnt 0x0
	v_cmpx_lt_i64_e64 v[1:2], v[3:4]
	s_cbranch_execz .LBB2_14
; %bb.7:
	s_wait_kmcnt 0x0
	v_mad_co_u64_u32 v[9:10], null, s20, v7, 0
	v_mad_co_u64_u32 v[11:12], null, s10, s2, v[1:2]
	v_sub_co_u32 v3, vcc_lo, v3, s39
	s_delay_alu instid0(VALU_DEP_1) | instskip(NEXT) | instid1(VALU_DEP_4)
	v_subrev_co_ci_u32_e64 v4, null, 0, v4, vcc_lo
	v_mov_b32_e32 v6, v10
	v_lshrrev_b32_e32 v10, 3, v0
	v_sub_co_u32 v0, vcc_lo, v1, s39
	s_wait_alu 0xfffd
	v_subrev_co_ci_u32_e64 v1, null, 0, v2, vcc_lo
	v_mad_co_u64_u32 v[13:14], null, s21, v7, v[6:7]
	v_lshlrev_b32_e32 v2, 6, v10
	v_lshl_or_b32 v16, v10, 5, 0x800
	v_add_co_u32 v11, s0, v11, v15
	s_mul_u64 s[8:9], s[22:23], s[2:3]
	v_mov_b32_e32 v6, 0
	v_mov_b32_e32 v10, v13
	v_mad_co_u64_u32 v[12:13], null, s11, s2, v[12:13]
	v_lshl_or_b32 v17, v15, 3, v2
	v_lshl_or_b32 v18, v15, 2, v16
	s_delay_alu instid0(VALU_DEP_4)
	v_lshlrev_b64_e32 v[9:10], 2, v[9:10]
	s_mov_b32 s5, s39
	v_cmp_gt_i64_e32 vcc_lo, s[6:7], v[7:8]
	v_add_co_ci_u32_e64 v12, null, 0, v12, s0
	v_sub_co_u32 v11, s0, v11, s39
	s_wait_alu 0xf1ff
	s_delay_alu instid0(VALU_DEP_2) | instskip(SKIP_3) | instid1(VALU_DEP_3)
	v_subrev_co_ci_u32_e64 v12, null, 0, v12, s0
	v_add_co_u32 v13, s0, s18, v9
	s_wait_alu 0xf1ff
	v_add_co_ci_u32_e64 v14, null, s19, v10, s0
	v_lshlrev_b64_e32 v[9:10], 3, v[11:12]
	s_lshl_b64 s[0:1], s[8:9], 2
	v_lshlrev_b64_e32 v[11:12], 2, v[11:12]
	s_wait_alu 0xfffe
	v_add_co_u32 v19, s0, v13, s0
	s_wait_alu 0xf1ff
	v_add_co_ci_u32_e64 v20, null, s1, v14, s0
	v_add_co_u32 v9, s0, s14, v9
	s_wait_alu 0xf1ff
	v_add_co_ci_u32_e64 v10, null, s15, v10, s0
	;; [unrolled: 3-line block ×3, first 2 shown]
	s_mov_b32 s8, s3
	s_branch .LBB2_9
.LBB2_8:                                ;   in Loop: Header=BB2_9 Depth=1
	s_wait_alu 0xfffe
	s_or_b32 exec_lo, exec_lo, s1
	v_add_co_u32 v0, s0, v0, 8
	s_wait_alu 0xf1ff
	v_add_co_ci_u32_e64 v1, null, 0, v1, s0
	v_add_co_u32 v9, s0, v9, 64
	s_wait_alu 0xf1ff
	v_add_co_ci_u32_e64 v10, null, 0, v10, s0
	s_delay_alu instid0(VALU_DEP_3) | instskip(SKIP_4) | instid1(SALU_CYCLE_1)
	v_cmp_ge_i64_e64 s0, v[0:1], v[3:4]
	v_add_co_u32 v11, s1, v11, 32
	s_wait_alu 0xf1ff
	v_add_co_ci_u32_e64 v12, null, 0, v12, s1
	s_or_b32 s8, s0, s8
	s_and_not1_b32 exec_lo, exec_lo, s8
	s_cbranch_execz .LBB2_13
.LBB2_9:                                ; =>This Inner Loop Header: Depth=1
	v_add_co_u32 v13, s0, v15, v0
	s_wait_alu 0xf1ff
	v_add_co_ci_u32_e64 v14, null, 0, v1, s0
	s_barrier_signal -1
	s_barrier_wait -1
	s_delay_alu instid0(VALU_DEP_1)
	v_cmp_lt_i64_e64 s0, v[13:14], v[3:4]
	v_mov_b32_e32 v13, 0
	v_dual_mov_b32 v14, 0 :: v_dual_mov_b32 v21, 0
	global_inv scope:SCOPE_SE
	s_and_saveexec_b32 s1, s0
	s_cbranch_execz .LBB2_11
; %bb.10:                               ;   in Loop: Header=BB2_9 Depth=1
	global_load_b64 v[13:14], v[9:10], off
	global_load_b32 v21, v[11:12], off
	s_wait_loadcnt 0x1
	v_sub_co_u32 v13, s0, v13, s5
	s_wait_alu 0xf1ff
	v_subrev_co_ci_u32_e64 v14, null, 0, v14, s0
.LBB2_11:                               ;   in Loop: Header=BB2_9 Depth=1
	s_wait_alu 0xfffe
	s_or_b32 exec_lo, exec_lo, s1
	ds_store_b64 v17, v[13:14]
	s_wait_loadcnt 0x0
	ds_store_b32 v18, v21
	s_wait_dscnt 0x0
	s_barrier_signal -1
	s_barrier_wait -1
	global_inv scope:SCOPE_SE
	s_and_saveexec_b32 s1, vcc_lo
	s_cbranch_execz .LBB2_8
; %bb.12:                               ;   in Loop: Header=BB2_9 Depth=1
	ds_load_b128 v[21:24], v2
	ds_load_b128 v[25:28], v2 offset:16
	ds_load_b128 v[29:32], v2 offset:32
	ds_load_b128 v[33:36], v2 offset:48
	s_wait_dscnt 0x3
	v_lshlrev_b64_e32 v[13:14], 2, v[21:22]
	v_lshlrev_b64_e32 v[21:22], 2, v[23:24]
	s_wait_dscnt 0x2
	v_lshlrev_b64_e32 v[23:24], 2, v[25:26]
	v_lshlrev_b64_e32 v[25:26], 2, v[27:28]
	s_delay_alu instid0(VALU_DEP_4)
	v_add_co_u32 v13, s0, v19, v13
	s_wait_alu 0xf1ff
	v_add_co_ci_u32_e64 v14, null, v20, v14, s0
	v_add_co_u32 v21, s0, v19, v21
	s_wait_alu 0xf1ff
	v_add_co_ci_u32_e64 v22, null, v20, v22, s0
	v_add_co_u32 v23, s0, v19, v23
	global_load_b32 v37, v[13:14], off
	s_wait_alu 0xf1ff
	v_add_co_ci_u32_e64 v24, null, v20, v24, s0
	v_add_co_u32 v13, s0, v19, v25
	s_wait_alu 0xf1ff
	v_add_co_ci_u32_e64 v14, null, v20, v26, s0
	s_wait_dscnt 0x1
	v_lshlrev_b64_e32 v[25:26], 2, v[29:30]
	s_clause 0x2
	global_load_b32 v29, v[21:22], off
	global_load_b32 v30, v[23:24], off
	global_load_b32 v38, v[13:14], off
	v_lshlrev_b64_e32 v[13:14], 2, v[31:32]
	s_wait_dscnt 0x0
	v_lshlrev_b64_e32 v[23:24], 2, v[33:34]
	v_add_co_u32 v21, s0, v19, v25
	s_wait_alu 0xf1ff
	v_add_co_ci_u32_e64 v22, null, v20, v26, s0
	v_add_co_u32 v13, s0, v19, v13
	s_wait_alu 0xf1ff
	v_add_co_ci_u32_e64 v14, null, v20, v14, s0
	s_clause 0x1
	global_load_b32 v31, v[21:22], off
	global_load_b32 v32, v[13:14], off
	v_lshlrev_b64_e32 v[13:14], 2, v[35:36]
	v_add_co_u32 v21, s0, v19, v23
	s_wait_alu 0xf1ff
	v_add_co_ci_u32_e64 v22, null, v20, v24, s0
	s_delay_alu instid0(VALU_DEP_3)
	v_add_co_u32 v13, s0, v19, v13
	s_wait_alu 0xf1ff
	v_add_co_ci_u32_e64 v14, null, v20, v14, s0
	s_clause 0x1
	global_load_b32 v33, v[21:22], off
	global_load_b32 v13, v[13:14], off
	ds_load_b128 v[21:24], v16
	ds_load_b128 v[25:28], v16 offset:16
	s_wait_loadcnt_dscnt 0x701
	v_fmac_f32_e32 v6, v21, v37
	s_wait_loadcnt 0x6
	s_delay_alu instid0(VALU_DEP_1) | instskip(SKIP_1) | instid1(VALU_DEP_1)
	v_fmac_f32_e32 v6, v22, v29
	s_wait_loadcnt 0x5
	v_fmac_f32_e32 v6, v23, v30
	s_wait_loadcnt 0x4
	s_delay_alu instid0(VALU_DEP_1) | instskip(SKIP_1) | instid1(VALU_DEP_1)
	v_fmac_f32_e32 v6, v24, v38
	s_wait_loadcnt_dscnt 0x300
	v_fmac_f32_e32 v6, v25, v31
	s_wait_loadcnt 0x2
	s_delay_alu instid0(VALU_DEP_1) | instskip(SKIP_1) | instid1(VALU_DEP_1)
	v_fmac_f32_e32 v6, v26, v32
	s_wait_loadcnt 0x1
	v_fmac_f32_e32 v6, v27, v33
	s_wait_loadcnt 0x0
	s_delay_alu instid0(VALU_DEP_1)
	v_fmac_f32_e32 v6, v28, v13
	s_branch .LBB2_8
.LBB2_13:
	s_or_b32 exec_lo, exec_lo, s8
.LBB2_14:
	s_delay_alu instid0(SALU_CYCLE_1)
	s_or_b32 exec_lo, exec_lo, s4
	v_cmp_gt_i64_e32 vcc_lo, s[6:7], v[7:8]
	s_and_b32 exec_lo, exec_lo, vcc_lo
	s_cbranch_execz .LBB2_21
; %bb.15:
	s_wait_kmcnt 0x0
	s_cmp_lg_u32 s38, 1
	v_mul_f32_e32 v0, s28, v6
	s_cselect_b32 s4, -1, 0
	s_cmp_neq_f32 s30, 0
	s_mul_u64 s[0:1], s[36:37], s[2:3]
	s_cbranch_scc0 .LBB2_22
; %bb.16:
	s_wait_alu 0xfffe
	s_and_b32 vcc_lo, exec_lo, s4
	s_mov_b32 s2, -1
	s_wait_alu 0xfffe
	s_cbranch_vccz .LBB2_18
; %bb.17:
	v_mad_co_u64_u32 v[1:2], null, s26, v5, 0
	s_lshl_b64 s[2:3], s[0:1], 2
	v_mad_co_u64_u32 v[2:3], null, s27, v5, v[2:3]
	v_lshlrev_b32_e32 v3, 2, v7
	s_delay_alu instid0(VALU_DEP_2) | instskip(NEXT) | instid1(VALU_DEP_1)
	v_lshlrev_b64_e32 v[1:2], 2, v[1:2]
	v_add_co_u32 v1, vcc_lo, s24, v1
	s_wait_alu 0xfffd
	s_delay_alu instid0(VALU_DEP_2) | instskip(NEXT) | instid1(VALU_DEP_2)
	v_add_co_ci_u32_e64 v2, null, s25, v2, vcc_lo
	v_add_co_u32 v1, vcc_lo, v1, v3
	s_wait_alu 0xfffd
	s_delay_alu instid0(VALU_DEP_2) | instskip(SKIP_1) | instid1(VALU_DEP_2)
	v_add_co_ci_u32_e64 v2, null, 0, v2, vcc_lo
	s_wait_alu 0xfffe
	v_add_co_u32 v1, vcc_lo, v1, s2
	s_wait_alu 0xfffd
	s_delay_alu instid0(VALU_DEP_2)
	v_add_co_ci_u32_e64 v2, null, s3, v2, vcc_lo
	s_mov_b32 s2, 0
	global_load_b32 v3, v[1:2], off
	s_wait_loadcnt 0x0
	v_fma_f32 v3, s30, v3, v0
	global_store_b32 v[1:2], v3, off
.LBB2_18:
	s_wait_alu 0xfffe
	s_and_not1_b32 vcc_lo, exec_lo, s2
	s_wait_alu 0xfffe
	s_cbranch_vccnz .LBB2_20
; %bb.19:
	v_mad_co_u64_u32 v[1:2], null, s26, v7, 0
	s_lshl_b64 s[2:3], s[0:1], 2
	v_mad_co_u64_u32 v[2:3], null, s27, v7, v[2:3]
	v_lshlrev_b32_e32 v3, 2, v5
	s_delay_alu instid0(VALU_DEP_2) | instskip(NEXT) | instid1(VALU_DEP_1)
	v_lshlrev_b64_e32 v[1:2], 2, v[1:2]
	v_add_co_u32 v1, vcc_lo, s24, v1
	s_wait_alu 0xfffd
	s_delay_alu instid0(VALU_DEP_2) | instskip(NEXT) | instid1(VALU_DEP_2)
	v_add_co_ci_u32_e64 v2, null, s25, v2, vcc_lo
	v_add_co_u32 v1, vcc_lo, v1, v3
	s_wait_alu 0xfffd
	s_delay_alu instid0(VALU_DEP_2) | instskip(SKIP_1) | instid1(VALU_DEP_2)
	v_add_co_ci_u32_e64 v2, null, 0, v2, vcc_lo
	s_wait_alu 0xfffe
	v_add_co_u32 v1, vcc_lo, v1, s2
	s_wait_alu 0xfffd
	s_delay_alu instid0(VALU_DEP_2)
	v_add_co_ci_u32_e64 v2, null, s3, v2, vcc_lo
	global_load_b32 v3, v[1:2], off
	s_wait_loadcnt 0x0
	v_fma_f32 v3, s30, v3, v0
	global_store_b32 v[1:2], v3, off
.LBB2_20:
	s_cbranch_execz .LBB2_23
.LBB2_21:
	s_endpgm
.LBB2_22:
.LBB2_23:
	s_wait_alu 0xfffe
	s_and_b32 vcc_lo, exec_lo, s4
	s_mov_b32 s2, -1
	s_wait_alu 0xfffe
	s_cbranch_vccz .LBB2_25
; %bb.24:
	v_mad_co_u64_u32 v[1:2], null, s26, v5, 0
	s_lshl_b64 s[2:3], s[0:1], 2
	v_mad_co_u64_u32 v[2:3], null, s27, v5, v[2:3]
	v_lshlrev_b32_e32 v3, 2, v7
	s_delay_alu instid0(VALU_DEP_2) | instskip(NEXT) | instid1(VALU_DEP_1)
	v_lshlrev_b64_e32 v[1:2], 2, v[1:2]
	v_add_co_u32 v1, vcc_lo, s24, v1
	s_wait_alu 0xfffd
	s_delay_alu instid0(VALU_DEP_2) | instskip(NEXT) | instid1(VALU_DEP_2)
	v_add_co_ci_u32_e64 v2, null, s25, v2, vcc_lo
	v_add_co_u32 v1, vcc_lo, v1, v3
	s_wait_alu 0xfffd
	s_delay_alu instid0(VALU_DEP_2) | instskip(SKIP_1) | instid1(VALU_DEP_2)
	v_add_co_ci_u32_e64 v2, null, 0, v2, vcc_lo
	s_wait_alu 0xfffe
	v_add_co_u32 v1, vcc_lo, v1, s2
	s_wait_alu 0xfffd
	s_delay_alu instid0(VALU_DEP_2)
	v_add_co_ci_u32_e64 v2, null, s3, v2, vcc_lo
	s_mov_b32 s2, 0
	global_store_b32 v[1:2], v0, off
.LBB2_25:
	s_wait_alu 0xfffe
	s_and_not1_b32 vcc_lo, exec_lo, s2
	s_wait_alu 0xfffe
	s_cbranch_vccnz .LBB2_21
; %bb.26:
	v_mad_co_u64_u32 v[1:2], null, s26, v7, 0
	s_lshl_b64 s[0:1], s[0:1], 2
	v_mad_co_u64_u32 v[2:3], null, s27, v7, v[2:3]
	v_lshlrev_b32_e32 v3, 2, v5
	s_delay_alu instid0(VALU_DEP_2) | instskip(NEXT) | instid1(VALU_DEP_1)
	v_lshlrev_b64_e32 v[1:2], 2, v[1:2]
	v_add_co_u32 v1, vcc_lo, s24, v1
	s_wait_alu 0xfffd
	s_delay_alu instid0(VALU_DEP_2) | instskip(NEXT) | instid1(VALU_DEP_2)
	v_add_co_ci_u32_e64 v2, null, s25, v2, vcc_lo
	v_add_co_u32 v1, vcc_lo, v1, v3
	s_wait_alu 0xfffd
	s_delay_alu instid0(VALU_DEP_2) | instskip(SKIP_1) | instid1(VALU_DEP_2)
	v_add_co_ci_u32_e64 v2, null, 0, v2, vcc_lo
	s_wait_alu 0xfffe
	v_add_co_u32 v1, vcc_lo, v1, s0
	s_wait_alu 0xfffd
	s_delay_alu instid0(VALU_DEP_2)
	v_add_co_ci_u32_e64 v2, null, s1, v2, vcc_lo
	global_store_b32 v[1:2], v0, off
	s_endpgm
	.section	.rodata,"a",@progbits
	.p2align	6, 0x0
	.amdhsa_kernel _ZN9rocsparse31csrmmnn_row_split_shared_kernelILj256ELj8EfllfffEEvNS_24const_host_device_scalarIT1_EES3_bbbT3_S4_llPKT2_PKS4_PKT4_PKT5_llPT6_ll16rocsparse_order_21rocsparse_index_base_
		.amdhsa_group_segment_fixed_size 3072
		.amdhsa_private_segment_fixed_size 0
		.amdhsa_kernarg_size 136
		.amdhsa_user_sgpr_count 2
		.amdhsa_user_sgpr_dispatch_ptr 0
		.amdhsa_user_sgpr_queue_ptr 0
		.amdhsa_user_sgpr_kernarg_segment_ptr 1
		.amdhsa_user_sgpr_dispatch_id 0
		.amdhsa_user_sgpr_private_segment_size 0
		.amdhsa_wavefront_size32 1
		.amdhsa_uses_dynamic_stack 0
		.amdhsa_enable_private_segment 0
		.amdhsa_system_sgpr_workgroup_id_x 1
		.amdhsa_system_sgpr_workgroup_id_y 1
		.amdhsa_system_sgpr_workgroup_id_z 1
		.amdhsa_system_sgpr_workgroup_info 0
		.amdhsa_system_vgpr_workitem_id 0
		.amdhsa_next_free_vgpr 39
		.amdhsa_next_free_sgpr 40
		.amdhsa_reserve_vcc 1
		.amdhsa_float_round_mode_32 0
		.amdhsa_float_round_mode_16_64 0
		.amdhsa_float_denorm_mode_32 3
		.amdhsa_float_denorm_mode_16_64 3
		.amdhsa_fp16_overflow 0
		.amdhsa_workgroup_processor_mode 1
		.amdhsa_memory_ordered 1
		.amdhsa_forward_progress 1
		.amdhsa_inst_pref_size 16
		.amdhsa_round_robin_scheduling 0
		.amdhsa_exception_fp_ieee_invalid_op 0
		.amdhsa_exception_fp_denorm_src 0
		.amdhsa_exception_fp_ieee_div_zero 0
		.amdhsa_exception_fp_ieee_overflow 0
		.amdhsa_exception_fp_ieee_underflow 0
		.amdhsa_exception_fp_ieee_inexact 0
		.amdhsa_exception_int_div_zero 0
	.end_amdhsa_kernel
	.section	.text._ZN9rocsparse31csrmmnn_row_split_shared_kernelILj256ELj8EfllfffEEvNS_24const_host_device_scalarIT1_EES3_bbbT3_S4_llPKT2_PKS4_PKT4_PKT5_llPT6_ll16rocsparse_order_21rocsparse_index_base_,"axG",@progbits,_ZN9rocsparse31csrmmnn_row_split_shared_kernelILj256ELj8EfllfffEEvNS_24const_host_device_scalarIT1_EES3_bbbT3_S4_llPKT2_PKS4_PKT4_PKT5_llPT6_ll16rocsparse_order_21rocsparse_index_base_,comdat
.Lfunc_end2:
	.size	_ZN9rocsparse31csrmmnn_row_split_shared_kernelILj256ELj8EfllfffEEvNS_24const_host_device_scalarIT1_EES3_bbbT3_S4_llPKT2_PKS4_PKT4_PKT5_llPT6_ll16rocsparse_order_21rocsparse_index_base_, .Lfunc_end2-_ZN9rocsparse31csrmmnn_row_split_shared_kernelILj256ELj8EfllfffEEvNS_24const_host_device_scalarIT1_EES3_bbbT3_S4_llPKT2_PKS4_PKT4_PKT5_llPT6_ll16rocsparse_order_21rocsparse_index_base_
                                        ; -- End function
	.set _ZN9rocsparse31csrmmnn_row_split_shared_kernelILj256ELj8EfllfffEEvNS_24const_host_device_scalarIT1_EES3_bbbT3_S4_llPKT2_PKS4_PKT4_PKT5_llPT6_ll16rocsparse_order_21rocsparse_index_base_.num_vgpr, 39
	.set _ZN9rocsparse31csrmmnn_row_split_shared_kernelILj256ELj8EfllfffEEvNS_24const_host_device_scalarIT1_EES3_bbbT3_S4_llPKT2_PKS4_PKT4_PKT5_llPT6_ll16rocsparse_order_21rocsparse_index_base_.num_agpr, 0
	.set _ZN9rocsparse31csrmmnn_row_split_shared_kernelILj256ELj8EfllfffEEvNS_24const_host_device_scalarIT1_EES3_bbbT3_S4_llPKT2_PKS4_PKT4_PKT5_llPT6_ll16rocsparse_order_21rocsparse_index_base_.numbered_sgpr, 40
	.set _ZN9rocsparse31csrmmnn_row_split_shared_kernelILj256ELj8EfllfffEEvNS_24const_host_device_scalarIT1_EES3_bbbT3_S4_llPKT2_PKS4_PKT4_PKT5_llPT6_ll16rocsparse_order_21rocsparse_index_base_.num_named_barrier, 0
	.set _ZN9rocsparse31csrmmnn_row_split_shared_kernelILj256ELj8EfllfffEEvNS_24const_host_device_scalarIT1_EES3_bbbT3_S4_llPKT2_PKS4_PKT4_PKT5_llPT6_ll16rocsparse_order_21rocsparse_index_base_.private_seg_size, 0
	.set _ZN9rocsparse31csrmmnn_row_split_shared_kernelILj256ELj8EfllfffEEvNS_24const_host_device_scalarIT1_EES3_bbbT3_S4_llPKT2_PKS4_PKT4_PKT5_llPT6_ll16rocsparse_order_21rocsparse_index_base_.uses_vcc, 1
	.set _ZN9rocsparse31csrmmnn_row_split_shared_kernelILj256ELj8EfllfffEEvNS_24const_host_device_scalarIT1_EES3_bbbT3_S4_llPKT2_PKS4_PKT4_PKT5_llPT6_ll16rocsparse_order_21rocsparse_index_base_.uses_flat_scratch, 0
	.set _ZN9rocsparse31csrmmnn_row_split_shared_kernelILj256ELj8EfllfffEEvNS_24const_host_device_scalarIT1_EES3_bbbT3_S4_llPKT2_PKS4_PKT4_PKT5_llPT6_ll16rocsparse_order_21rocsparse_index_base_.has_dyn_sized_stack, 0
	.set _ZN9rocsparse31csrmmnn_row_split_shared_kernelILj256ELj8EfllfffEEvNS_24const_host_device_scalarIT1_EES3_bbbT3_S4_llPKT2_PKS4_PKT4_PKT5_llPT6_ll16rocsparse_order_21rocsparse_index_base_.has_recursion, 0
	.set _ZN9rocsparse31csrmmnn_row_split_shared_kernelILj256ELj8EfllfffEEvNS_24const_host_device_scalarIT1_EES3_bbbT3_S4_llPKT2_PKS4_PKT4_PKT5_llPT6_ll16rocsparse_order_21rocsparse_index_base_.has_indirect_call, 0
	.section	.AMDGPU.csdata,"",@progbits
; Kernel info:
; codeLenInByte = 1956
; TotalNumSgprs: 42
; NumVgprs: 39
; ScratchSize: 0
; MemoryBound: 0
; FloatMode: 240
; IeeeMode: 1
; LDSByteSize: 3072 bytes/workgroup (compile time only)
; SGPRBlocks: 0
; VGPRBlocks: 4
; NumSGPRsForWavesPerEU: 42
; NumVGPRsForWavesPerEU: 39
; Occupancy: 16
; WaveLimiterHint : 0
; COMPUTE_PGM_RSRC2:SCRATCH_EN: 0
; COMPUTE_PGM_RSRC2:USER_SGPR: 2
; COMPUTE_PGM_RSRC2:TRAP_HANDLER: 0
; COMPUTE_PGM_RSRC2:TGID_X_EN: 1
; COMPUTE_PGM_RSRC2:TGID_Y_EN: 1
; COMPUTE_PGM_RSRC2:TGID_Z_EN: 1
; COMPUTE_PGM_RSRC2:TIDIG_COMP_CNT: 0
	.section	.text._ZN9rocsparse31csrmmnn_row_split_shared_kernelILj256ELj8EdiidddEEvNS_24const_host_device_scalarIT1_EES3_bbbT3_S4_llPKT2_PKS4_PKT4_PKT5_llPT6_ll16rocsparse_order_21rocsparse_index_base_,"axG",@progbits,_ZN9rocsparse31csrmmnn_row_split_shared_kernelILj256ELj8EdiidddEEvNS_24const_host_device_scalarIT1_EES3_bbbT3_S4_llPKT2_PKS4_PKT4_PKT5_llPT6_ll16rocsparse_order_21rocsparse_index_base_,comdat
	.protected	_ZN9rocsparse31csrmmnn_row_split_shared_kernelILj256ELj8EdiidddEEvNS_24const_host_device_scalarIT1_EES3_bbbT3_S4_llPKT2_PKS4_PKT4_PKT5_llPT6_ll16rocsparse_order_21rocsparse_index_base_ ; -- Begin function _ZN9rocsparse31csrmmnn_row_split_shared_kernelILj256ELj8EdiidddEEvNS_24const_host_device_scalarIT1_EES3_bbbT3_S4_llPKT2_PKS4_PKT4_PKT5_llPT6_ll16rocsparse_order_21rocsparse_index_base_
	.globl	_ZN9rocsparse31csrmmnn_row_split_shared_kernelILj256ELj8EdiidddEEvNS_24const_host_device_scalarIT1_EES3_bbbT3_S4_llPKT2_PKS4_PKT4_PKT5_llPT6_ll16rocsparse_order_21rocsparse_index_base_
	.p2align	8
	.type	_ZN9rocsparse31csrmmnn_row_split_shared_kernelILj256ELj8EdiidddEEvNS_24const_host_device_scalarIT1_EES3_bbbT3_S4_llPKT2_PKS4_PKT4_PKT5_llPT6_ll16rocsparse_order_21rocsparse_index_base_,@function
_ZN9rocsparse31csrmmnn_row_split_shared_kernelILj256ELj8EdiidddEEvNS_24const_host_device_scalarIT1_EES3_bbbT3_S4_llPKT2_PKS4_PKT4_PKT5_llPT6_ll16rocsparse_order_21rocsparse_index_base_: ; @_ZN9rocsparse31csrmmnn_row_split_shared_kernelILj256ELj8EdiidddEEvNS_24const_host_device_scalarIT1_EES3_bbbT3_S4_llPKT2_PKS4_PKT4_PKT5_llPT6_ll16rocsparse_order_21rocsparse_index_base_
; %bb.0:
	s_clause 0x1
	s_load_b96 s[20:22], s[0:1], 0x10
	s_load_b128 s[4:7], s[0:1], 0x0
	s_wait_kmcnt 0x0
	s_bitcmp1_b32 s20, 0
	v_dual_mov_b32 v3, s4 :: v_dual_mov_b32 v4, s5
	s_cselect_b32 s2, -1, 0
	s_delay_alu instid0(SALU_CYCLE_1)
	s_and_b32 vcc_lo, exec_lo, s2
	s_xor_b32 s2, s2, -1
	s_cbranch_vccnz .LBB3_2
; %bb.1:
	v_dual_mov_b32 v1, s4 :: v_dual_mov_b32 v2, s5
	flat_load_b64 v[3:4], v[1:2]
.LBB3_2:
	v_dual_mov_b32 v1, s6 :: v_dual_mov_b32 v2, s7
	s_and_not1_b32 vcc_lo, exec_lo, s2
	s_cbranch_vccnz .LBB3_4
; %bb.3:
	v_dual_mov_b32 v1, s6 :: v_dual_mov_b32 v2, s7
	flat_load_b64 v[1:2], v[1:2]
.LBB3_4:
	s_wait_loadcnt_dscnt 0x0
	v_cmp_neq_f64_e32 vcc_lo, 0, v[3:4]
	v_cmp_neq_f64_e64 s2, 1.0, v[1:2]
	s_or_b32 s2, vcc_lo, s2
	s_delay_alu instid0(SALU_CYCLE_1)
	s_and_saveexec_b32 s3, s2
	s_cbranch_execz .LBB3_25
; %bb.5:
	v_lshl_or_b32 v5, ttmp9, 8, v0
	s_delay_alu instid0(VALU_DEP_1) | instskip(NEXT) | instid1(VALU_DEP_1)
	v_lshrrev_b32_e32 v9, 3, v5
	v_cmp_gt_i32_e32 vcc_lo, s21, v9
	s_and_b32 exec_lo, exec_lo, vcc_lo
	s_cbranch_execz .LBB3_25
; %bb.6:
	s_load_b512 s[4:19], s[0:1], 0x20
	s_mov_b32 s21, 0
	s_lshr_b32 s20, ttmp7, 16
	v_lshlrev_b32_e32 v5, 2, v9
	v_and_b32_e32 v11, 7, v0
	s_wait_kmcnt 0x0
	s_wait_alu 0xfffe
	s_mul_u64 s[2:3], s[4:5], s[20:21]
	s_load_b64 s[4:5], s[0:1], 0x78
	s_lshl_b64 s[2:3], s[2:3], 2
	s_delay_alu instid0(SALU_CYCLE_1)
	s_add_nc_u64 s[2:3], s[8:9], s[2:3]
	global_load_b64 v[7:8], v5, s[2:3]
	s_and_b32 s2, ttmp7, 0xffff
	v_mov_b32_e32 v5, 0
	v_mov_b32_e32 v6, 0
	v_lshl_or_b32 v10, s2, 3, v11
	s_mov_b32 s3, exec_lo
	s_wait_loadcnt 0x0
	v_cmpx_lt_i32_e64 v7, v8
	s_cbranch_execz .LBB3_14
; %bb.7:
	v_mad_co_u64_u32 v[5:6], null, s16, v10, 0
	s_wait_kmcnt 0x0
	v_subrev_nc_u32_e32 v12, s5, v8
	s_mul_u64 s[8:9], s[18:19], s[20:21]
	s_mul_u64 s[6:7], s[6:7], s[20:21]
	s_lshl_b64 s[8:9], s[8:9], 3
	v_cmp_gt_i32_e32 vcc_lo, s22, v10
	s_delay_alu instid0(VALU_DEP_3) | instskip(SKIP_2) | instid1(VALU_DEP_3)
	v_mad_co_u64_u32 v[13:14], null, s17, v10, v[6:7]
	v_lshrrev_b32_e32 v14, 3, v0
	v_subrev_nc_u32_e32 v0, s5, v7
	v_mov_b32_e32 v6, v13
	s_delay_alu instid0(VALU_DEP_3) | instskip(SKIP_1) | instid1(VALU_DEP_3)
	v_lshl_or_b32 v13, v14, 5, 0x800
	v_lshlrev_b32_e32 v14, 6, v14
	v_lshlrev_b64_e32 v[7:8], 3, v[5:6]
	v_mov_b32_e32 v5, 0
	v_mov_b32_e32 v6, 0
	v_lshl_or_b32 v15, v11, 2, v13
	v_lshl_or_b32 v16, v11, 3, v14
	v_add_co_u32 v7, s2, s14, v7
	s_wait_alu 0xf1ff
	v_add_co_ci_u32_e64 v8, null, s15, v8, s2
	s_delay_alu instid0(VALU_DEP_2) | instskip(SKIP_1) | instid1(VALU_DEP_2)
	v_add_co_u32 v17, s2, v7, s8
	s_wait_alu 0xf1ff
	v_add_co_ci_u32_e64 v18, null, s9, v8, s2
	s_mov_b32 s8, s21
	s_branch .LBB3_9
.LBB3_8:                                ;   in Loop: Header=BB3_9 Depth=1
	s_wait_alu 0xfffe
	s_or_b32 exec_lo, exec_lo, s9
	v_add_nc_u32_e32 v0, 8, v0
	s_delay_alu instid0(VALU_DEP_1)
	v_cmp_ge_i32_e64 s2, v0, v12
	s_or_b32 s8, s2, s8
	s_wait_alu 0xfffe
	s_and_not1_b32 exec_lo, exec_lo, s8
	s_cbranch_execz .LBB3_13
.LBB3_9:                                ; =>This Inner Loop Header: Depth=1
	v_dual_mov_b32 v7, 0 :: v_dual_mov_b32 v20, 0
	v_dual_mov_b32 v8, 0 :: v_dual_add_nc_u32 v19, v11, v0
	s_mov_b32 s9, exec_lo
	s_barrier_signal -1
	s_barrier_wait -1
	global_inv scope:SCOPE_SE
	v_cmpx_lt_i32_e64 v19, v12
	s_cbranch_execz .LBB3_11
; %bb.10:                               ;   in Loop: Header=BB3_9 Depth=1
	v_ashrrev_i32_e32 v8, 31, v19
	s_wait_alu 0xfffe
	v_add_co_u32 v7, s2, s6, v19
	s_wait_alu 0xf1ff
	s_delay_alu instid0(VALU_DEP_2) | instskip(NEXT) | instid1(VALU_DEP_1)
	v_add_co_ci_u32_e64 v8, null, s7, v8, s2
	v_lshlrev_b64_e32 v[19:20], 2, v[7:8]
	v_lshlrev_b64_e32 v[7:8], 3, v[7:8]
	s_delay_alu instid0(VALU_DEP_2) | instskip(SKIP_1) | instid1(VALU_DEP_3)
	v_add_co_u32 v19, s2, s10, v19
	s_wait_alu 0xf1ff
	v_add_co_ci_u32_e64 v20, null, s11, v20, s2
	s_delay_alu instid0(VALU_DEP_3)
	v_add_co_u32 v7, s2, s12, v7
	s_wait_alu 0xf1ff
	v_add_co_ci_u32_e64 v8, null, s13, v8, s2
	global_load_b32 v19, v[19:20], off
	global_load_b64 v[7:8], v[7:8], off
	s_wait_loadcnt 0x1
	v_subrev_nc_u32_e32 v20, s5, v19
.LBB3_11:                               ;   in Loop: Header=BB3_9 Depth=1
	s_wait_alu 0xfffe
	s_or_b32 exec_lo, exec_lo, s9
	ds_store_b32 v15, v20
	s_wait_loadcnt 0x0
	ds_store_b64 v16, v[7:8]
	s_wait_dscnt 0x0
	s_barrier_signal -1
	s_barrier_wait -1
	global_inv scope:SCOPE_SE
	s_and_saveexec_b32 s9, vcc_lo
	s_cbranch_execz .LBB3_8
; %bb.12:                               ;   in Loop: Header=BB3_9 Depth=1
	ds_load_b128 v[19:22], v13
	ds_load_b128 v[23:26], v13 offset:16
	s_wait_dscnt 0x1
	v_ashrrev_i32_e32 v8, 31, v19
	v_mov_b32_e32 v7, v19
	v_ashrrev_i32_e32 v28, 31, v20
	v_mov_b32_e32 v27, v20
	s_delay_alu instid0(VALU_DEP_3) | instskip(NEXT) | instid1(VALU_DEP_2)
	v_lshlrev_b64_e32 v[7:8], 3, v[7:8]
	v_lshlrev_b64_e32 v[19:20], 3, v[27:28]
	s_delay_alu instid0(VALU_DEP_2) | instskip(SKIP_1) | instid1(VALU_DEP_3)
	v_add_co_u32 v7, s2, v17, v7
	s_wait_alu 0xf1ff
	v_add_co_ci_u32_e64 v8, null, v18, v8, s2
	s_delay_alu instid0(VALU_DEP_3)
	v_add_co_u32 v19, s2, v17, v19
	s_wait_alu 0xf1ff
	v_add_co_ci_u32_e64 v20, null, v18, v20, s2
	s_clause 0x1
	global_load_b64 v[7:8], v[7:8], off
	global_load_b64 v[27:28], v[19:20], off
	v_ashrrev_i32_e32 v20, 31, v21
	v_mov_b32_e32 v19, v21
	s_delay_alu instid0(VALU_DEP_1) | instskip(NEXT) | instid1(VALU_DEP_1)
	v_lshlrev_b64_e32 v[19:20], 3, v[19:20]
	v_add_co_u32 v19, s2, v17, v19
	s_wait_alu 0xf1ff
	s_delay_alu instid0(VALU_DEP_2) | instskip(SKIP_3) | instid1(VALU_DEP_1)
	v_add_co_ci_u32_e64 v20, null, v18, v20, s2
	global_load_b64 v[29:30], v[19:20], off
	v_ashrrev_i32_e32 v20, 31, v22
	v_mov_b32_e32 v19, v22
	v_lshlrev_b64_e32 v[19:20], 3, v[19:20]
	s_delay_alu instid0(VALU_DEP_1) | instskip(SKIP_1) | instid1(VALU_DEP_2)
	v_add_co_u32 v19, s2, v17, v19
	s_wait_alu 0xf1ff
	v_add_co_ci_u32_e64 v20, null, v18, v20, s2
	global_load_b64 v[31:32], v[19:20], off
	s_wait_dscnt 0x0
	v_ashrrev_i32_e32 v20, 31, v23
	v_mov_b32_e32 v19, v23
	s_delay_alu instid0(VALU_DEP_1) | instskip(NEXT) | instid1(VALU_DEP_1)
	v_lshlrev_b64_e32 v[19:20], 3, v[19:20]
	v_add_co_u32 v19, s2, v17, v19
	s_wait_alu 0xf1ff
	s_delay_alu instid0(VALU_DEP_2) | instskip(SKIP_3) | instid1(VALU_DEP_1)
	v_add_co_ci_u32_e64 v20, null, v18, v20, s2
	global_load_b64 v[33:34], v[19:20], off
	v_ashrrev_i32_e32 v20, 31, v24
	v_mov_b32_e32 v19, v24
	v_lshlrev_b64_e32 v[19:20], 3, v[19:20]
	s_delay_alu instid0(VALU_DEP_1) | instskip(SKIP_1) | instid1(VALU_DEP_2)
	v_add_co_u32 v19, s2, v17, v19
	s_wait_alu 0xf1ff
	v_add_co_ci_u32_e64 v20, null, v18, v20, s2
	global_load_b64 v[35:36], v[19:20], off
	v_ashrrev_i32_e32 v20, 31, v25
	v_mov_b32_e32 v19, v25
	s_delay_alu instid0(VALU_DEP_1) | instskip(NEXT) | instid1(VALU_DEP_1)
	v_lshlrev_b64_e32 v[19:20], 3, v[19:20]
	v_add_co_u32 v19, s2, v17, v19
	s_wait_alu 0xf1ff
	s_delay_alu instid0(VALU_DEP_2) | instskip(SKIP_3) | instid1(VALU_DEP_1)
	v_add_co_ci_u32_e64 v20, null, v18, v20, s2
	global_load_b64 v[37:38], v[19:20], off
	v_ashrrev_i32_e32 v20, 31, v26
	v_mov_b32_e32 v19, v26
	v_lshlrev_b64_e32 v[19:20], 3, v[19:20]
	s_delay_alu instid0(VALU_DEP_1) | instskip(SKIP_1) | instid1(VALU_DEP_2)
	v_add_co_u32 v19, s2, v17, v19
	s_wait_alu 0xf1ff
	v_add_co_ci_u32_e64 v20, null, v18, v20, s2
	global_load_b64 v[39:40], v[19:20], off
	ds_load_b128 v[19:22], v14
	ds_load_b128 v[23:26], v14 offset:16
	s_wait_loadcnt_dscnt 0x701
	v_fma_f64 v[5:6], v[19:20], v[7:8], v[5:6]
	s_wait_loadcnt 0x6
	s_delay_alu instid0(VALU_DEP_1) | instskip(SKIP_1) | instid1(VALU_DEP_1)
	v_fma_f64 v[5:6], v[21:22], v[27:28], v[5:6]
	s_wait_loadcnt_dscnt 0x500
	v_fma_f64 v[5:6], v[23:24], v[29:30], v[5:6]
	s_wait_loadcnt 0x4
	s_delay_alu instid0(VALU_DEP_1)
	v_fma_f64 v[23:24], v[25:26], v[31:32], v[5:6]
	ds_load_b128 v[5:8], v14 offset:32
	ds_load_b128 v[19:22], v14 offset:48
	s_wait_loadcnt_dscnt 0x301
	v_fma_f64 v[5:6], v[5:6], v[33:34], v[23:24]
	s_wait_loadcnt 0x2
	s_delay_alu instid0(VALU_DEP_1) | instskip(SKIP_1) | instid1(VALU_DEP_1)
	v_fma_f64 v[5:6], v[7:8], v[35:36], v[5:6]
	s_wait_loadcnt_dscnt 0x100
	v_fma_f64 v[5:6], v[19:20], v[37:38], v[5:6]
	s_wait_loadcnt 0x0
	s_delay_alu instid0(VALU_DEP_1)
	v_fma_f64 v[5:6], v[21:22], v[39:40], v[5:6]
	s_branch .LBB3_8
.LBB3_13:
	s_or_b32 exec_lo, exec_lo, s8
.LBB3_14:
	s_wait_alu 0xfffe
	s_or_b32 exec_lo, exec_lo, s3
	v_cmp_gt_i32_e32 vcc_lo, s22, v10
	s_and_b32 exec_lo, exec_lo, vcc_lo
	s_cbranch_execz .LBB3_25
; %bb.15:
	v_mul_f64_e32 v[3:4], v[3:4], v[5:6]
	s_clause 0x1
	s_load_b64 s[8:9], s[0:1], 0x70
	s_load_b128 s[0:3], s[0:1], 0x60
	s_wait_kmcnt 0x0
	s_cmp_lg_u32 s4, 1
	s_mov_b32 s7, exec_lo
	s_cselect_b32 s6, -1, 0
	s_mul_u64 s[4:5], s[8:9], s[20:21]
	v_cmpx_neq_f64_e32 0, v[1:2]
	s_wait_alu 0xfffe
	s_xor_b32 s7, exec_lo, s7
	s_cbranch_execz .LBB3_20
; %bb.16:
	s_and_b32 vcc_lo, exec_lo, s6
	s_mov_b32 s8, -1
	s_cbranch_vccz .LBB3_18
; %bb.17:
	v_mad_co_u64_u32 v[5:6], null, s2, v9, 0
	s_lshl_b64 s[8:9], s[4:5], 3
	v_mov_b32_e32 v0, v6
	s_delay_alu instid0(VALU_DEP_1) | instskip(SKIP_1) | instid1(VALU_DEP_2)
	v_mad_co_u64_u32 v[6:7], null, s3, v9, v[0:1]
	v_lshlrev_b32_e32 v0, 3, v10
	v_lshlrev_b64_e32 v[5:6], 3, v[5:6]
	s_delay_alu instid0(VALU_DEP_1) | instskip(NEXT) | instid1(VALU_DEP_1)
	v_add_co_u32 v5, vcc_lo, s0, v5
	v_add_co_ci_u32_e64 v6, null, s1, v6, vcc_lo
	s_delay_alu instid0(VALU_DEP_2) | instskip(SKIP_1) | instid1(VALU_DEP_2)
	v_add_co_u32 v0, vcc_lo, v5, v0
	s_wait_alu 0xfffd
	v_add_co_ci_u32_e64 v6, null, 0, v6, vcc_lo
	s_wait_alu 0xfffe
	s_delay_alu instid0(VALU_DEP_2) | instskip(SKIP_1) | instid1(VALU_DEP_2)
	v_add_co_u32 v5, vcc_lo, v0, s8
	s_wait_alu 0xfffd
	v_add_co_ci_u32_e64 v6, null, s9, v6, vcc_lo
	s_mov_b32 s8, 0
	global_load_b64 v[7:8], v[5:6], off
	s_wait_loadcnt 0x0
	v_fma_f64 v[7:8], v[1:2], v[7:8], v[3:4]
	global_store_b64 v[5:6], v[7:8], off
.LBB3_18:
	s_wait_alu 0xfffe
	s_and_not1_b32 vcc_lo, exec_lo, s8
	s_wait_alu 0xfffe
	s_cbranch_vccnz .LBB3_20
; %bb.19:
	v_mad_co_u64_u32 v[5:6], null, s2, v10, 0
	s_lshl_b64 s[8:9], s[4:5], 3
	v_mov_b32_e32 v0, v6
	s_delay_alu instid0(VALU_DEP_1) | instskip(SKIP_1) | instid1(VALU_DEP_2)
	v_mad_co_u64_u32 v[6:7], null, s3, v10, v[0:1]
	v_lshlrev_b32_e32 v0, 3, v9
                                        ; implicit-def: $vgpr10
                                        ; implicit-def: $vgpr9
	v_lshlrev_b64_e32 v[5:6], 3, v[5:6]
	s_delay_alu instid0(VALU_DEP_1) | instskip(SKIP_1) | instid1(VALU_DEP_2)
	v_add_co_u32 v5, vcc_lo, s0, v5
	s_wait_alu 0xfffd
	v_add_co_ci_u32_e64 v6, null, s1, v6, vcc_lo
	s_delay_alu instid0(VALU_DEP_2) | instskip(SKIP_1) | instid1(VALU_DEP_2)
	v_add_co_u32 v0, vcc_lo, v5, v0
	s_wait_alu 0xfffd
	v_add_co_ci_u32_e64 v6, null, 0, v6, vcc_lo
	s_wait_alu 0xfffe
	s_delay_alu instid0(VALU_DEP_2) | instskip(SKIP_1) | instid1(VALU_DEP_2)
	v_add_co_u32 v5, vcc_lo, v0, s8
	s_wait_alu 0xfffd
	v_add_co_ci_u32_e64 v6, null, s9, v6, vcc_lo
	global_load_b64 v[7:8], v[5:6], off
	s_wait_loadcnt 0x0
	v_fma_f64 v[0:1], v[1:2], v[7:8], v[3:4]
                                        ; implicit-def: $vgpr3_vgpr4
	global_store_b64 v[5:6], v[0:1], off
.LBB3_20:
	s_wait_alu 0xfffe
	s_and_not1_saveexec_b32 s7, s7
	s_cbranch_execz .LBB3_25
; %bb.21:
	s_and_b32 vcc_lo, exec_lo, s6
	s_mov_b32 s6, -1
	s_wait_alu 0xfffe
	s_cbranch_vccz .LBB3_23
; %bb.22:
	v_mad_co_u64_u32 v[0:1], null, s2, v9, 0
	s_lshl_b64 s[6:7], s[4:5], 3
	v_mad_co_u64_u32 v[1:2], null, s3, v9, v[1:2]
	v_lshlrev_b32_e32 v2, 3, v10
	s_delay_alu instid0(VALU_DEP_2) | instskip(NEXT) | instid1(VALU_DEP_1)
	v_lshlrev_b64_e32 v[0:1], 3, v[0:1]
	v_add_co_u32 v0, vcc_lo, s0, v0
	s_wait_alu 0xfffd
	s_delay_alu instid0(VALU_DEP_2) | instskip(NEXT) | instid1(VALU_DEP_2)
	v_add_co_ci_u32_e64 v1, null, s1, v1, vcc_lo
	v_add_co_u32 v0, vcc_lo, v0, v2
	s_wait_alu 0xfffd
	s_delay_alu instid0(VALU_DEP_2) | instskip(SKIP_1) | instid1(VALU_DEP_2)
	v_add_co_ci_u32_e64 v1, null, 0, v1, vcc_lo
	s_wait_alu 0xfffe
	v_add_co_u32 v0, vcc_lo, v0, s6
	s_wait_alu 0xfffd
	s_delay_alu instid0(VALU_DEP_2)
	v_add_co_ci_u32_e64 v1, null, s7, v1, vcc_lo
	s_mov_b32 s6, 0
	global_store_b64 v[0:1], v[3:4], off
.LBB3_23:
	s_wait_alu 0xfffe
	s_and_not1_b32 vcc_lo, exec_lo, s6
	s_wait_alu 0xfffe
	s_cbranch_vccnz .LBB3_25
; %bb.24:
	v_mad_co_u64_u32 v[0:1], null, s2, v10, 0
	s_delay_alu instid0(VALU_DEP_1) | instskip(SKIP_1) | instid1(VALU_DEP_2)
	v_mad_co_u64_u32 v[1:2], null, s3, v10, v[1:2]
	v_lshlrev_b32_e32 v2, 3, v9
	v_lshlrev_b64_e32 v[0:1], 3, v[0:1]
	s_delay_alu instid0(VALU_DEP_1) | instskip(SKIP_1) | instid1(VALU_DEP_2)
	v_add_co_u32 v0, vcc_lo, s0, v0
	s_wait_alu 0xfffd
	v_add_co_ci_u32_e64 v1, null, s1, v1, vcc_lo
	s_lshl_b64 s[0:1], s[4:5], 3
	v_add_co_u32 v0, vcc_lo, v0, v2
	s_wait_alu 0xfffd
	v_add_co_ci_u32_e64 v1, null, 0, v1, vcc_lo
	s_wait_alu 0xfffe
	s_delay_alu instid0(VALU_DEP_2) | instskip(SKIP_1) | instid1(VALU_DEP_2)
	v_add_co_u32 v0, vcc_lo, v0, s0
	s_wait_alu 0xfffd
	v_add_co_ci_u32_e64 v1, null, s1, v1, vcc_lo
	global_store_b64 v[0:1], v[3:4], off
.LBB3_25:
	s_endpgm
	.section	.rodata,"a",@progbits
	.p2align	6, 0x0
	.amdhsa_kernel _ZN9rocsparse31csrmmnn_row_split_shared_kernelILj256ELj8EdiidddEEvNS_24const_host_device_scalarIT1_EES3_bbbT3_S4_llPKT2_PKS4_PKT4_PKT5_llPT6_ll16rocsparse_order_21rocsparse_index_base_
		.amdhsa_group_segment_fixed_size 3072
		.amdhsa_private_segment_fixed_size 0
		.amdhsa_kernarg_size 128
		.amdhsa_user_sgpr_count 2
		.amdhsa_user_sgpr_dispatch_ptr 0
		.amdhsa_user_sgpr_queue_ptr 0
		.amdhsa_user_sgpr_kernarg_segment_ptr 1
		.amdhsa_user_sgpr_dispatch_id 0
		.amdhsa_user_sgpr_private_segment_size 0
		.amdhsa_wavefront_size32 1
		.amdhsa_uses_dynamic_stack 0
		.amdhsa_enable_private_segment 0
		.amdhsa_system_sgpr_workgroup_id_x 1
		.amdhsa_system_sgpr_workgroup_id_y 1
		.amdhsa_system_sgpr_workgroup_id_z 1
		.amdhsa_system_sgpr_workgroup_info 0
		.amdhsa_system_vgpr_workitem_id 0
		.amdhsa_next_free_vgpr 41
		.amdhsa_next_free_sgpr 23
		.amdhsa_reserve_vcc 1
		.amdhsa_float_round_mode_32 0
		.amdhsa_float_round_mode_16_64 0
		.amdhsa_float_denorm_mode_32 3
		.amdhsa_float_denorm_mode_16_64 3
		.amdhsa_fp16_overflow 0
		.amdhsa_workgroup_processor_mode 1
		.amdhsa_memory_ordered 1
		.amdhsa_forward_progress 1
		.amdhsa_inst_pref_size 16
		.amdhsa_round_robin_scheduling 0
		.amdhsa_exception_fp_ieee_invalid_op 0
		.amdhsa_exception_fp_denorm_src 0
		.amdhsa_exception_fp_ieee_div_zero 0
		.amdhsa_exception_fp_ieee_overflow 0
		.amdhsa_exception_fp_ieee_underflow 0
		.amdhsa_exception_fp_ieee_inexact 0
		.amdhsa_exception_int_div_zero 0
	.end_amdhsa_kernel
	.section	.text._ZN9rocsparse31csrmmnn_row_split_shared_kernelILj256ELj8EdiidddEEvNS_24const_host_device_scalarIT1_EES3_bbbT3_S4_llPKT2_PKS4_PKT4_PKT5_llPT6_ll16rocsparse_order_21rocsparse_index_base_,"axG",@progbits,_ZN9rocsparse31csrmmnn_row_split_shared_kernelILj256ELj8EdiidddEEvNS_24const_host_device_scalarIT1_EES3_bbbT3_S4_llPKT2_PKS4_PKT4_PKT5_llPT6_ll16rocsparse_order_21rocsparse_index_base_,comdat
.Lfunc_end3:
	.size	_ZN9rocsparse31csrmmnn_row_split_shared_kernelILj256ELj8EdiidddEEvNS_24const_host_device_scalarIT1_EES3_bbbT3_S4_llPKT2_PKS4_PKT4_PKT5_llPT6_ll16rocsparse_order_21rocsparse_index_base_, .Lfunc_end3-_ZN9rocsparse31csrmmnn_row_split_shared_kernelILj256ELj8EdiidddEEvNS_24const_host_device_scalarIT1_EES3_bbbT3_S4_llPKT2_PKS4_PKT4_PKT5_llPT6_ll16rocsparse_order_21rocsparse_index_base_
                                        ; -- End function
	.set _ZN9rocsparse31csrmmnn_row_split_shared_kernelILj256ELj8EdiidddEEvNS_24const_host_device_scalarIT1_EES3_bbbT3_S4_llPKT2_PKS4_PKT4_PKT5_llPT6_ll16rocsparse_order_21rocsparse_index_base_.num_vgpr, 41
	.set _ZN9rocsparse31csrmmnn_row_split_shared_kernelILj256ELj8EdiidddEEvNS_24const_host_device_scalarIT1_EES3_bbbT3_S4_llPKT2_PKS4_PKT4_PKT5_llPT6_ll16rocsparse_order_21rocsparse_index_base_.num_agpr, 0
	.set _ZN9rocsparse31csrmmnn_row_split_shared_kernelILj256ELj8EdiidddEEvNS_24const_host_device_scalarIT1_EES3_bbbT3_S4_llPKT2_PKS4_PKT4_PKT5_llPT6_ll16rocsparse_order_21rocsparse_index_base_.numbered_sgpr, 23
	.set _ZN9rocsparse31csrmmnn_row_split_shared_kernelILj256ELj8EdiidddEEvNS_24const_host_device_scalarIT1_EES3_bbbT3_S4_llPKT2_PKS4_PKT4_PKT5_llPT6_ll16rocsparse_order_21rocsparse_index_base_.num_named_barrier, 0
	.set _ZN9rocsparse31csrmmnn_row_split_shared_kernelILj256ELj8EdiidddEEvNS_24const_host_device_scalarIT1_EES3_bbbT3_S4_llPKT2_PKS4_PKT4_PKT5_llPT6_ll16rocsparse_order_21rocsparse_index_base_.private_seg_size, 0
	.set _ZN9rocsparse31csrmmnn_row_split_shared_kernelILj256ELj8EdiidddEEvNS_24const_host_device_scalarIT1_EES3_bbbT3_S4_llPKT2_PKS4_PKT4_PKT5_llPT6_ll16rocsparse_order_21rocsparse_index_base_.uses_vcc, 1
	.set _ZN9rocsparse31csrmmnn_row_split_shared_kernelILj256ELj8EdiidddEEvNS_24const_host_device_scalarIT1_EES3_bbbT3_S4_llPKT2_PKS4_PKT4_PKT5_llPT6_ll16rocsparse_order_21rocsparse_index_base_.uses_flat_scratch, 0
	.set _ZN9rocsparse31csrmmnn_row_split_shared_kernelILj256ELj8EdiidddEEvNS_24const_host_device_scalarIT1_EES3_bbbT3_S4_llPKT2_PKS4_PKT4_PKT5_llPT6_ll16rocsparse_order_21rocsparse_index_base_.has_dyn_sized_stack, 0
	.set _ZN9rocsparse31csrmmnn_row_split_shared_kernelILj256ELj8EdiidddEEvNS_24const_host_device_scalarIT1_EES3_bbbT3_S4_llPKT2_PKS4_PKT4_PKT5_llPT6_ll16rocsparse_order_21rocsparse_index_base_.has_recursion, 0
	.set _ZN9rocsparse31csrmmnn_row_split_shared_kernelILj256ELj8EdiidddEEvNS_24const_host_device_scalarIT1_EES3_bbbT3_S4_llPKT2_PKS4_PKT4_PKT5_llPT6_ll16rocsparse_order_21rocsparse_index_base_.has_indirect_call, 0
	.section	.AMDGPU.csdata,"",@progbits
; Kernel info:
; codeLenInByte = 1984
; TotalNumSgprs: 25
; NumVgprs: 41
; ScratchSize: 0
; MemoryBound: 0
; FloatMode: 240
; IeeeMode: 1
; LDSByteSize: 3072 bytes/workgroup (compile time only)
; SGPRBlocks: 0
; VGPRBlocks: 5
; NumSGPRsForWavesPerEU: 25
; NumVGPRsForWavesPerEU: 41
; Occupancy: 16
; WaveLimiterHint : 1
; COMPUTE_PGM_RSRC2:SCRATCH_EN: 0
; COMPUTE_PGM_RSRC2:USER_SGPR: 2
; COMPUTE_PGM_RSRC2:TRAP_HANDLER: 0
; COMPUTE_PGM_RSRC2:TGID_X_EN: 1
; COMPUTE_PGM_RSRC2:TGID_Y_EN: 1
; COMPUTE_PGM_RSRC2:TGID_Z_EN: 1
; COMPUTE_PGM_RSRC2:TIDIG_COMP_CNT: 0
	.section	.text._ZN9rocsparse31csrmmnn_row_split_shared_kernelILj256ELj8EdlidddEEvNS_24const_host_device_scalarIT1_EES3_bbbT3_S4_llPKT2_PKS4_PKT4_PKT5_llPT6_ll16rocsparse_order_21rocsparse_index_base_,"axG",@progbits,_ZN9rocsparse31csrmmnn_row_split_shared_kernelILj256ELj8EdlidddEEvNS_24const_host_device_scalarIT1_EES3_bbbT3_S4_llPKT2_PKS4_PKT4_PKT5_llPT6_ll16rocsparse_order_21rocsparse_index_base_,comdat
	.protected	_ZN9rocsparse31csrmmnn_row_split_shared_kernelILj256ELj8EdlidddEEvNS_24const_host_device_scalarIT1_EES3_bbbT3_S4_llPKT2_PKS4_PKT4_PKT5_llPT6_ll16rocsparse_order_21rocsparse_index_base_ ; -- Begin function _ZN9rocsparse31csrmmnn_row_split_shared_kernelILj256ELj8EdlidddEEvNS_24const_host_device_scalarIT1_EES3_bbbT3_S4_llPKT2_PKS4_PKT4_PKT5_llPT6_ll16rocsparse_order_21rocsparse_index_base_
	.globl	_ZN9rocsparse31csrmmnn_row_split_shared_kernelILj256ELj8EdlidddEEvNS_24const_host_device_scalarIT1_EES3_bbbT3_S4_llPKT2_PKS4_PKT4_PKT5_llPT6_ll16rocsparse_order_21rocsparse_index_base_
	.p2align	8
	.type	_ZN9rocsparse31csrmmnn_row_split_shared_kernelILj256ELj8EdlidddEEvNS_24const_host_device_scalarIT1_EES3_bbbT3_S4_llPKT2_PKS4_PKT4_PKT5_llPT6_ll16rocsparse_order_21rocsparse_index_base_,@function
_ZN9rocsparse31csrmmnn_row_split_shared_kernelILj256ELj8EdlidddEEvNS_24const_host_device_scalarIT1_EES3_bbbT3_S4_llPKT2_PKS4_PKT4_PKT5_llPT6_ll16rocsparse_order_21rocsparse_index_base_: ; @_ZN9rocsparse31csrmmnn_row_split_shared_kernelILj256ELj8EdlidddEEvNS_24const_host_device_scalarIT1_EES3_bbbT3_S4_llPKT2_PKS4_PKT4_PKT5_llPT6_ll16rocsparse_order_21rocsparse_index_base_
; %bb.0:
	s_clause 0x1
	s_load_b96 s[20:22], s[0:1], 0x10
	s_load_b128 s[4:7], s[0:1], 0x0
	s_wait_kmcnt 0x0
	s_bitcmp1_b32 s20, 0
	v_dual_mov_b32 v8, s5 :: v_dual_mov_b32 v7, s4
	s_cselect_b32 s2, -1, 0
	s_delay_alu instid0(SALU_CYCLE_1)
	s_and_b32 vcc_lo, exec_lo, s2
	s_xor_b32 s2, s2, -1
	s_cbranch_vccnz .LBB4_2
; %bb.1:
	v_dual_mov_b32 v1, s4 :: v_dual_mov_b32 v2, s5
	flat_load_b64 v[7:8], v[1:2]
.LBB4_2:
	v_dual_mov_b32 v5, s6 :: v_dual_mov_b32 v6, s7
	s_and_not1_b32 vcc_lo, exec_lo, s2
	s_cbranch_vccnz .LBB4_4
; %bb.3:
	v_dual_mov_b32 v1, s6 :: v_dual_mov_b32 v2, s7
	flat_load_b64 v[5:6], v[1:2]
.LBB4_4:
	s_wait_loadcnt_dscnt 0x0
	v_cmp_neq_f64_e32 vcc_lo, 0, v[7:8]
	v_cmp_neq_f64_e64 s2, 1.0, v[5:6]
	s_or_b32 s2, vcc_lo, s2
	s_delay_alu instid0(SALU_CYCLE_1)
	s_and_saveexec_b32 s3, s2
	s_cbranch_execz .LBB4_25
; %bb.5:
	v_lshl_or_b32 v1, ttmp9, 8, v0
	s_delay_alu instid0(VALU_DEP_1) | instskip(NEXT) | instid1(VALU_DEP_1)
	v_lshrrev_b32_e32 v19, 3, v1
	v_cmp_gt_i32_e32 vcc_lo, s21, v19
	s_and_b32 exec_lo, exec_lo, vcc_lo
	s_cbranch_execz .LBB4_25
; %bb.6:
	s_load_b512 s[4:19], s[0:1], 0x20
	s_mov_b32 s21, 0
	s_lshr_b32 s20, ttmp7, 16
	v_lshlrev_b32_e32 v17, 3, v19
	v_dual_mov_b32 v9, 0 :: v_dual_and_b32 v20, 7, v0
	v_mov_b32_e32 v10, 0
	s_wait_kmcnt 0x0
	s_wait_alu 0xfffe
	s_mul_u64 s[2:3], s[4:5], s[20:21]
	s_load_b64 s[4:5], s[0:1], 0x78
	s_lshl_b64 s[2:3], s[2:3], 3
	s_delay_alu instid0(SALU_CYCLE_1) | instskip(SKIP_3) | instid1(SALU_CYCLE_1)
	s_add_nc_u64 s[2:3], s[8:9], s[2:3]
	s_mov_b32 s8, exec_lo
	global_load_b128 v[1:4], v17, s[2:3]
	s_and_b32 s2, ttmp7, 0xffff
	v_lshl_or_b32 v18, s2, 3, v20
	s_wait_loadcnt 0x0
	v_cmpx_lt_i64_e64 v[1:2], v[3:4]
	s_cbranch_execz .LBB4_14
; %bb.7:
	s_delay_alu instid0(VALU_DEP_2) | instskip(SKIP_4) | instid1(VALU_DEP_1)
	v_mad_co_u64_u32 v[9:10], null, s16, v18, 0
	v_mad_co_u64_u32 v[11:12], null, s6, s20, v[1:2]
	v_lshrrev_b32_e32 v15, 3, v0
	s_wait_kmcnt 0x0
	v_sub_co_u32 v3, vcc_lo, v3, s5
	v_subrev_co_ci_u32_e64 v4, null, 0, v4, vcc_lo
	v_sub_co_u32 v0, vcc_lo, v1, s5
	v_mad_co_u64_u32 v[13:14], null, s17, v18, v[10:11]
	s_wait_alu 0xfffd
	v_subrev_co_ci_u32_e64 v1, null, 0, v2, vcc_lo
	v_lshl_or_b32 v2, v15, 5, 0x800
	v_lshlrev_b32_e32 v21, 6, v15
	v_add_co_u32 v11, s2, v11, v20
	v_mad_co_u64_u32 v[14:15], null, s7, s20, v[12:13]
	v_mov_b32_e32 v10, v13
	s_mul_u64 s[6:7], s[18:19], s[20:21]
	v_lshl_or_b32 v22, v20, 2, v2
	v_lshl_or_b32 v23, v20, 3, v21
	v_cmp_gt_i32_e32 vcc_lo, s22, v18
	v_lshlrev_b64_e32 v[9:10], 3, v[9:10]
	v_add_co_ci_u32_e64 v12, null, 0, v14, s2
	v_sub_co_u32 v11, s2, v11, s5
	s_wait_alu 0xf1ff
	s_delay_alu instid0(VALU_DEP_2) | instskip(NEXT) | instid1(VALU_DEP_4)
	v_subrev_co_ci_u32_e64 v12, null, 0, v12, s2
	v_add_co_u32 v13, s2, s14, v9
	s_wait_alu 0xf1ff
	v_add_co_ci_u32_e64 v14, null, s15, v10, s2
	s_wait_alu 0xfffe
	s_lshl_b64 s[2:3], s[6:7], 3
	v_lshlrev_b64_e32 v[9:10], 2, v[11:12]
	s_wait_alu 0xfffe
	v_add_co_u32 v24, s2, v13, s2
	s_wait_alu 0xf1ff
	v_add_co_ci_u32_e64 v25, null, s3, v14, s2
	v_lshlrev_b64_e32 v[13:14], 3, v[11:12]
	v_add_co_u32 v11, s2, s10, v9
	s_wait_alu 0xf1ff
	v_add_co_ci_u32_e64 v12, null, s11, v10, s2
	v_mov_b32_e32 v9, 0
	s_delay_alu instid0(VALU_DEP_4)
	v_add_co_u32 v13, s2, s12, v13
	v_mov_b32_e32 v10, 0
	s_wait_alu 0xf1ff
	v_add_co_ci_u32_e64 v14, null, s13, v14, s2
	s_mov_b32 s6, s21
	s_branch .LBB4_9
.LBB4_8:                                ;   in Loop: Header=BB4_9 Depth=1
	s_wait_alu 0xfffe
	s_or_b32 exec_lo, exec_lo, s3
	v_add_co_u32 v0, s2, v0, 8
	s_wait_alu 0xf1ff
	v_add_co_ci_u32_e64 v1, null, 0, v1, s2
	v_add_co_u32 v11, s2, v11, 32
	s_wait_alu 0xf1ff
	v_add_co_ci_u32_e64 v12, null, 0, v12, s2
	s_delay_alu instid0(VALU_DEP_3)
	v_cmp_ge_i64_e64 s2, v[0:1], v[3:4]
	v_add_co_u32 v13, s3, v13, 64
	s_wait_alu 0xf1ff
	v_add_co_ci_u32_e64 v14, null, 0, v14, s3
	s_or_b32 s6, s2, s6
	s_wait_alu 0xfffe
	s_and_not1_b32 exec_lo, exec_lo, s6
	s_cbranch_execz .LBB4_13
.LBB4_9:                                ; =>This Inner Loop Header: Depth=1
	v_add_co_u32 v15, s2, v20, v0
	s_wait_alu 0xf1ff
	v_add_co_ci_u32_e64 v16, null, 0, v1, s2
	s_barrier_signal -1
	s_barrier_wait -1
	s_delay_alu instid0(VALU_DEP_1)
	v_cmp_lt_i64_e64 s2, v[15:16], v[3:4]
	v_dual_mov_b32 v15, 0 :: v_dual_mov_b32 v26, 0
	v_mov_b32_e32 v16, 0
	global_inv scope:SCOPE_SE
	s_and_saveexec_b32 s3, s2
	s_cbranch_execz .LBB4_11
; %bb.10:                               ;   in Loop: Header=BB4_9 Depth=1
	global_load_b32 v26, v[11:12], off
	global_load_b64 v[15:16], v[13:14], off
	s_wait_loadcnt 0x1
	v_subrev_nc_u32_e32 v26, s5, v26
.LBB4_11:                               ;   in Loop: Header=BB4_9 Depth=1
	s_wait_alu 0xfffe
	s_or_b32 exec_lo, exec_lo, s3
	ds_store_b32 v22, v26
	s_wait_loadcnt 0x0
	ds_store_b64 v23, v[15:16]
	s_wait_dscnt 0x0
	s_barrier_signal -1
	s_barrier_wait -1
	global_inv scope:SCOPE_SE
	s_and_saveexec_b32 s3, vcc_lo
	s_cbranch_execz .LBB4_8
; %bb.12:                               ;   in Loop: Header=BB4_9 Depth=1
	ds_load_b128 v[26:29], v2
	ds_load_b128 v[30:33], v2 offset:16
	s_wait_dscnt 0x1
	v_ashrrev_i32_e32 v16, 31, v26
	v_dual_mov_b32 v15, v26 :: v_dual_mov_b32 v34, v27
	v_ashrrev_i32_e32 v35, 31, v27
	s_delay_alu instid0(VALU_DEP_2) | instskip(NEXT) | instid1(VALU_DEP_2)
	v_lshlrev_b64_e32 v[15:16], 3, v[15:16]
	v_lshlrev_b64_e32 v[26:27], 3, v[34:35]
	s_delay_alu instid0(VALU_DEP_2) | instskip(SKIP_1) | instid1(VALU_DEP_3)
	v_add_co_u32 v15, s2, v24, v15
	s_wait_alu 0xf1ff
	v_add_co_ci_u32_e64 v16, null, v25, v16, s2
	s_delay_alu instid0(VALU_DEP_3)
	v_add_co_u32 v26, s2, v24, v26
	s_wait_alu 0xf1ff
	v_add_co_ci_u32_e64 v27, null, v25, v27, s2
	s_clause 0x1
	global_load_b64 v[15:16], v[15:16], off
	global_load_b64 v[34:35], v[26:27], off
	v_ashrrev_i32_e32 v27, 31, v28
	v_mov_b32_e32 v26, v28
	s_delay_alu instid0(VALU_DEP_1) | instskip(NEXT) | instid1(VALU_DEP_1)
	v_lshlrev_b64_e32 v[26:27], 3, v[26:27]
	v_add_co_u32 v26, s2, v24, v26
	s_wait_alu 0xf1ff
	s_delay_alu instid0(VALU_DEP_2) | instskip(SKIP_3) | instid1(VALU_DEP_1)
	v_add_co_ci_u32_e64 v27, null, v25, v27, s2
	global_load_b64 v[36:37], v[26:27], off
	v_ashrrev_i32_e32 v27, 31, v29
	v_mov_b32_e32 v26, v29
	v_lshlrev_b64_e32 v[26:27], 3, v[26:27]
	s_delay_alu instid0(VALU_DEP_1) | instskip(SKIP_1) | instid1(VALU_DEP_2)
	v_add_co_u32 v26, s2, v24, v26
	s_wait_alu 0xf1ff
	v_add_co_ci_u32_e64 v27, null, v25, v27, s2
	global_load_b64 v[38:39], v[26:27], off
	s_wait_dscnt 0x0
	v_ashrrev_i32_e32 v27, 31, v30
	v_mov_b32_e32 v26, v30
	s_delay_alu instid0(VALU_DEP_1) | instskip(NEXT) | instid1(VALU_DEP_1)
	v_lshlrev_b64_e32 v[26:27], 3, v[26:27]
	v_add_co_u32 v26, s2, v24, v26
	s_wait_alu 0xf1ff
	s_delay_alu instid0(VALU_DEP_2) | instskip(SKIP_3) | instid1(VALU_DEP_1)
	v_add_co_ci_u32_e64 v27, null, v25, v27, s2
	global_load_b64 v[40:41], v[26:27], off
	v_ashrrev_i32_e32 v27, 31, v31
	v_mov_b32_e32 v26, v31
	v_lshlrev_b64_e32 v[26:27], 3, v[26:27]
	s_delay_alu instid0(VALU_DEP_1) | instskip(SKIP_1) | instid1(VALU_DEP_2)
	v_add_co_u32 v26, s2, v24, v26
	s_wait_alu 0xf1ff
	v_add_co_ci_u32_e64 v27, null, v25, v27, s2
	global_load_b64 v[42:43], v[26:27], off
	v_ashrrev_i32_e32 v27, 31, v32
	v_mov_b32_e32 v26, v32
	s_delay_alu instid0(VALU_DEP_1) | instskip(NEXT) | instid1(VALU_DEP_1)
	v_lshlrev_b64_e32 v[26:27], 3, v[26:27]
	v_add_co_u32 v26, s2, v24, v26
	s_wait_alu 0xf1ff
	s_delay_alu instid0(VALU_DEP_2) | instskip(SKIP_3) | instid1(VALU_DEP_1)
	v_add_co_ci_u32_e64 v27, null, v25, v27, s2
	global_load_b64 v[44:45], v[26:27], off
	v_ashrrev_i32_e32 v27, 31, v33
	v_mov_b32_e32 v26, v33
	v_lshlrev_b64_e32 v[26:27], 3, v[26:27]
	s_delay_alu instid0(VALU_DEP_1) | instskip(SKIP_1) | instid1(VALU_DEP_2)
	v_add_co_u32 v26, s2, v24, v26
	s_wait_alu 0xf1ff
	v_add_co_ci_u32_e64 v27, null, v25, v27, s2
	global_load_b64 v[46:47], v[26:27], off
	ds_load_b128 v[26:29], v21
	ds_load_b128 v[30:33], v21 offset:16
	s_wait_loadcnt_dscnt 0x701
	v_fma_f64 v[9:10], v[26:27], v[15:16], v[9:10]
	s_wait_loadcnt 0x6
	s_delay_alu instid0(VALU_DEP_1) | instskip(SKIP_1) | instid1(VALU_DEP_1)
	v_fma_f64 v[9:10], v[28:29], v[34:35], v[9:10]
	s_wait_loadcnt_dscnt 0x500
	v_fma_f64 v[9:10], v[30:31], v[36:37], v[9:10]
	s_wait_loadcnt 0x4
	s_delay_alu instid0(VALU_DEP_1)
	v_fma_f64 v[9:10], v[32:33], v[38:39], v[9:10]
	ds_load_b128 v[26:29], v21 offset:32
	ds_load_b128 v[30:33], v21 offset:48
	s_wait_loadcnt_dscnt 0x301
	v_fma_f64 v[9:10], v[26:27], v[40:41], v[9:10]
	s_wait_loadcnt 0x2
	s_delay_alu instid0(VALU_DEP_1) | instskip(SKIP_1) | instid1(VALU_DEP_1)
	v_fma_f64 v[9:10], v[28:29], v[42:43], v[9:10]
	s_wait_loadcnt_dscnt 0x100
	v_fma_f64 v[9:10], v[30:31], v[44:45], v[9:10]
	s_wait_loadcnt 0x0
	s_delay_alu instid0(VALU_DEP_1)
	v_fma_f64 v[9:10], v[32:33], v[46:47], v[9:10]
	s_branch .LBB4_8
.LBB4_13:
	s_or_b32 exec_lo, exec_lo, s6
.LBB4_14:
	s_delay_alu instid0(SALU_CYCLE_1)
	s_or_b32 exec_lo, exec_lo, s8
	v_cmp_gt_i32_e32 vcc_lo, s22, v18
	s_and_b32 exec_lo, exec_lo, vcc_lo
	s_cbranch_execz .LBB4_25
; %bb.15:
	v_mul_f64_e32 v[0:1], v[7:8], v[9:10]
	s_clause 0x1
	s_load_b64 s[8:9], s[0:1], 0x70
	s_load_b128 s[0:3], s[0:1], 0x60
	s_wait_kmcnt 0x0
	s_cmp_lg_u32 s4, 1
	s_mov_b32 s7, exec_lo
	s_cselect_b32 s6, -1, 0
	s_mul_u64 s[4:5], s[8:9], s[20:21]
	v_cmpx_neq_f64_e32 0, v[5:6]
	s_wait_alu 0xfffe
	s_xor_b32 s7, exec_lo, s7
	s_cbranch_execz .LBB4_20
; %bb.16:
	s_and_b32 vcc_lo, exec_lo, s6
	s_mov_b32 s8, -1
	s_wait_alu 0xfffe
	s_cbranch_vccz .LBB4_18
; %bb.17:
	v_mad_co_u64_u32 v[2:3], null, s2, v19, 0
	s_lshl_b64 s[8:9], s[4:5], 3
	v_mad_co_u64_u32 v[3:4], null, s3, v19, v[3:4]
	v_lshlrev_b32_e32 v4, 3, v18
	s_delay_alu instid0(VALU_DEP_2) | instskip(NEXT) | instid1(VALU_DEP_1)
	v_lshlrev_b64_e32 v[2:3], 3, v[2:3]
	v_add_co_u32 v2, vcc_lo, s0, v2
	s_wait_alu 0xfffd
	s_delay_alu instid0(VALU_DEP_2) | instskip(NEXT) | instid1(VALU_DEP_2)
	v_add_co_ci_u32_e64 v3, null, s1, v3, vcc_lo
	v_add_co_u32 v2, vcc_lo, v2, v4
	s_wait_alu 0xfffd
	s_delay_alu instid0(VALU_DEP_2) | instskip(NEXT) | instid1(VALU_DEP_2)
	v_add_co_ci_u32_e64 v3, null, 0, v3, vcc_lo
	v_add_co_u32 v2, vcc_lo, v2, s8
	s_wait_alu 0xfffd
	s_delay_alu instid0(VALU_DEP_2)
	v_add_co_ci_u32_e64 v3, null, s9, v3, vcc_lo
	s_mov_b32 s8, 0
	global_load_b64 v[7:8], v[2:3], off
	s_wait_loadcnt 0x0
	v_fma_f64 v[7:8], v[5:6], v[7:8], v[0:1]
	global_store_b64 v[2:3], v[7:8], off
.LBB4_18:
	s_wait_alu 0xfffe
	s_and_not1_b32 vcc_lo, exec_lo, s8
                                        ; implicit-def: $vgpr19
	s_wait_alu 0xfffe
	s_cbranch_vccnz .LBB4_20
; %bb.19:
	v_mad_co_u64_u32 v[2:3], null, s2, v18, 0
	s_lshl_b64 s[8:9], s[4:5], 3
                                        ; implicit-def: $vgpr19
	v_mad_co_u64_u32 v[3:4], null, s3, v18, v[3:4]
                                        ; implicit-def: $vgpr18
	s_delay_alu instid0(VALU_DEP_1) | instskip(NEXT) | instid1(VALU_DEP_1)
	v_lshlrev_b64_e32 v[2:3], 3, v[2:3]
	v_add_co_u32 v2, vcc_lo, s0, v2
	s_wait_alu 0xfffd
	s_delay_alu instid0(VALU_DEP_2) | instskip(NEXT) | instid1(VALU_DEP_2)
	v_add_co_ci_u32_e64 v3, null, s1, v3, vcc_lo
	v_add_co_u32 v2, vcc_lo, v2, v17
	s_wait_alu 0xfffd
	s_delay_alu instid0(VALU_DEP_2) | instskip(SKIP_1) | instid1(VALU_DEP_2)
	v_add_co_ci_u32_e64 v3, null, 0, v3, vcc_lo
                                        ; implicit-def: $vgpr17
	s_wait_alu 0xfffe
	v_add_co_u32 v2, vcc_lo, v2, s8
	s_wait_alu 0xfffd
	s_delay_alu instid0(VALU_DEP_2)
	v_add_co_ci_u32_e64 v3, null, s9, v3, vcc_lo
	global_load_b64 v[7:8], v[2:3], off
	s_wait_loadcnt 0x0
	v_fma_f64 v[0:1], v[5:6], v[7:8], v[0:1]
	global_store_b64 v[2:3], v[0:1], off
                                        ; implicit-def: $vgpr0_vgpr1
.LBB4_20:
	s_wait_alu 0xfffe
	s_and_not1_saveexec_b32 s7, s7
	s_cbranch_execz .LBB4_25
; %bb.21:
	s_and_b32 vcc_lo, exec_lo, s6
	s_mov_b32 s6, -1
	s_wait_alu 0xfffe
	s_cbranch_vccz .LBB4_23
; %bb.22:
	v_mad_co_u64_u32 v[2:3], null, s2, v19, 0
	s_lshl_b64 s[6:7], s[4:5], 3
	v_mad_co_u64_u32 v[3:4], null, s3, v19, v[3:4]
	v_lshlrev_b32_e32 v4, 3, v18
	s_delay_alu instid0(VALU_DEP_2) | instskip(NEXT) | instid1(VALU_DEP_1)
	v_lshlrev_b64_e32 v[2:3], 3, v[2:3]
	v_add_co_u32 v2, vcc_lo, s0, v2
	s_wait_alu 0xfffd
	s_delay_alu instid0(VALU_DEP_2) | instskip(NEXT) | instid1(VALU_DEP_2)
	v_add_co_ci_u32_e64 v3, null, s1, v3, vcc_lo
	v_add_co_u32 v2, vcc_lo, v2, v4
	s_wait_alu 0xfffd
	s_delay_alu instid0(VALU_DEP_2) | instskip(SKIP_1) | instid1(VALU_DEP_2)
	v_add_co_ci_u32_e64 v3, null, 0, v3, vcc_lo
	s_wait_alu 0xfffe
	v_add_co_u32 v2, vcc_lo, v2, s6
	s_wait_alu 0xfffd
	s_delay_alu instid0(VALU_DEP_2)
	v_add_co_ci_u32_e64 v3, null, s7, v3, vcc_lo
	s_mov_b32 s6, 0
	global_store_b64 v[2:3], v[0:1], off
.LBB4_23:
	s_wait_alu 0xfffe
	s_and_not1_b32 vcc_lo, exec_lo, s6
	s_wait_alu 0xfffe
	s_cbranch_vccnz .LBB4_25
; %bb.24:
	v_mad_co_u64_u32 v[2:3], null, s2, v18, 0
	s_delay_alu instid0(VALU_DEP_1) | instskip(NEXT) | instid1(VALU_DEP_1)
	v_mad_co_u64_u32 v[3:4], null, s3, v18, v[3:4]
	v_lshlrev_b64_e32 v[2:3], 3, v[2:3]
	s_delay_alu instid0(VALU_DEP_1) | instskip(SKIP_1) | instid1(VALU_DEP_2)
	v_add_co_u32 v2, vcc_lo, s0, v2
	s_wait_alu 0xfffd
	v_add_co_ci_u32_e64 v3, null, s1, v3, vcc_lo
	s_lshl_b64 s[0:1], s[4:5], 3
	v_add_co_u32 v2, vcc_lo, v2, v17
	s_wait_alu 0xfffd
	v_add_co_ci_u32_e64 v3, null, 0, v3, vcc_lo
	s_wait_alu 0xfffe
	s_delay_alu instid0(VALU_DEP_2) | instskip(SKIP_1) | instid1(VALU_DEP_2)
	v_add_co_u32 v2, vcc_lo, v2, s0
	s_wait_alu 0xfffd
	v_add_co_ci_u32_e64 v3, null, s1, v3, vcc_lo
	global_store_b64 v[2:3], v[0:1], off
.LBB4_25:
	s_endpgm
	.section	.rodata,"a",@progbits
	.p2align	6, 0x0
	.amdhsa_kernel _ZN9rocsparse31csrmmnn_row_split_shared_kernelILj256ELj8EdlidddEEvNS_24const_host_device_scalarIT1_EES3_bbbT3_S4_llPKT2_PKS4_PKT4_PKT5_llPT6_ll16rocsparse_order_21rocsparse_index_base_
		.amdhsa_group_segment_fixed_size 3072
		.amdhsa_private_segment_fixed_size 0
		.amdhsa_kernarg_size 128
		.amdhsa_user_sgpr_count 2
		.amdhsa_user_sgpr_dispatch_ptr 0
		.amdhsa_user_sgpr_queue_ptr 0
		.amdhsa_user_sgpr_kernarg_segment_ptr 1
		.amdhsa_user_sgpr_dispatch_id 0
		.amdhsa_user_sgpr_private_segment_size 0
		.amdhsa_wavefront_size32 1
		.amdhsa_uses_dynamic_stack 0
		.amdhsa_enable_private_segment 0
		.amdhsa_system_sgpr_workgroup_id_x 1
		.amdhsa_system_sgpr_workgroup_id_y 1
		.amdhsa_system_sgpr_workgroup_id_z 1
		.amdhsa_system_sgpr_workgroup_info 0
		.amdhsa_system_vgpr_workitem_id 0
		.amdhsa_next_free_vgpr 48
		.amdhsa_next_free_sgpr 23
		.amdhsa_reserve_vcc 1
		.amdhsa_float_round_mode_32 0
		.amdhsa_float_round_mode_16_64 0
		.amdhsa_float_denorm_mode_32 3
		.amdhsa_float_denorm_mode_16_64 3
		.amdhsa_fp16_overflow 0
		.amdhsa_workgroup_processor_mode 1
		.amdhsa_memory_ordered 1
		.amdhsa_forward_progress 1
		.amdhsa_inst_pref_size 17
		.amdhsa_round_robin_scheduling 0
		.amdhsa_exception_fp_ieee_invalid_op 0
		.amdhsa_exception_fp_denorm_src 0
		.amdhsa_exception_fp_ieee_div_zero 0
		.amdhsa_exception_fp_ieee_overflow 0
		.amdhsa_exception_fp_ieee_underflow 0
		.amdhsa_exception_fp_ieee_inexact 0
		.amdhsa_exception_int_div_zero 0
	.end_amdhsa_kernel
	.section	.text._ZN9rocsparse31csrmmnn_row_split_shared_kernelILj256ELj8EdlidddEEvNS_24const_host_device_scalarIT1_EES3_bbbT3_S4_llPKT2_PKS4_PKT4_PKT5_llPT6_ll16rocsparse_order_21rocsparse_index_base_,"axG",@progbits,_ZN9rocsparse31csrmmnn_row_split_shared_kernelILj256ELj8EdlidddEEvNS_24const_host_device_scalarIT1_EES3_bbbT3_S4_llPKT2_PKS4_PKT4_PKT5_llPT6_ll16rocsparse_order_21rocsparse_index_base_,comdat
.Lfunc_end4:
	.size	_ZN9rocsparse31csrmmnn_row_split_shared_kernelILj256ELj8EdlidddEEvNS_24const_host_device_scalarIT1_EES3_bbbT3_S4_llPKT2_PKS4_PKT4_PKT5_llPT6_ll16rocsparse_order_21rocsparse_index_base_, .Lfunc_end4-_ZN9rocsparse31csrmmnn_row_split_shared_kernelILj256ELj8EdlidddEEvNS_24const_host_device_scalarIT1_EES3_bbbT3_S4_llPKT2_PKS4_PKT4_PKT5_llPT6_ll16rocsparse_order_21rocsparse_index_base_
                                        ; -- End function
	.set _ZN9rocsparse31csrmmnn_row_split_shared_kernelILj256ELj8EdlidddEEvNS_24const_host_device_scalarIT1_EES3_bbbT3_S4_llPKT2_PKS4_PKT4_PKT5_llPT6_ll16rocsparse_order_21rocsparse_index_base_.num_vgpr, 48
	.set _ZN9rocsparse31csrmmnn_row_split_shared_kernelILj256ELj8EdlidddEEvNS_24const_host_device_scalarIT1_EES3_bbbT3_S4_llPKT2_PKS4_PKT4_PKT5_llPT6_ll16rocsparse_order_21rocsparse_index_base_.num_agpr, 0
	.set _ZN9rocsparse31csrmmnn_row_split_shared_kernelILj256ELj8EdlidddEEvNS_24const_host_device_scalarIT1_EES3_bbbT3_S4_llPKT2_PKS4_PKT4_PKT5_llPT6_ll16rocsparse_order_21rocsparse_index_base_.numbered_sgpr, 23
	.set _ZN9rocsparse31csrmmnn_row_split_shared_kernelILj256ELj8EdlidddEEvNS_24const_host_device_scalarIT1_EES3_bbbT3_S4_llPKT2_PKS4_PKT4_PKT5_llPT6_ll16rocsparse_order_21rocsparse_index_base_.num_named_barrier, 0
	.set _ZN9rocsparse31csrmmnn_row_split_shared_kernelILj256ELj8EdlidddEEvNS_24const_host_device_scalarIT1_EES3_bbbT3_S4_llPKT2_PKS4_PKT4_PKT5_llPT6_ll16rocsparse_order_21rocsparse_index_base_.private_seg_size, 0
	.set _ZN9rocsparse31csrmmnn_row_split_shared_kernelILj256ELj8EdlidddEEvNS_24const_host_device_scalarIT1_EES3_bbbT3_S4_llPKT2_PKS4_PKT4_PKT5_llPT6_ll16rocsparse_order_21rocsparse_index_base_.uses_vcc, 1
	.set _ZN9rocsparse31csrmmnn_row_split_shared_kernelILj256ELj8EdlidddEEvNS_24const_host_device_scalarIT1_EES3_bbbT3_S4_llPKT2_PKS4_PKT4_PKT5_llPT6_ll16rocsparse_order_21rocsparse_index_base_.uses_flat_scratch, 0
	.set _ZN9rocsparse31csrmmnn_row_split_shared_kernelILj256ELj8EdlidddEEvNS_24const_host_device_scalarIT1_EES3_bbbT3_S4_llPKT2_PKS4_PKT4_PKT5_llPT6_ll16rocsparse_order_21rocsparse_index_base_.has_dyn_sized_stack, 0
	.set _ZN9rocsparse31csrmmnn_row_split_shared_kernelILj256ELj8EdlidddEEvNS_24const_host_device_scalarIT1_EES3_bbbT3_S4_llPKT2_PKS4_PKT4_PKT5_llPT6_ll16rocsparse_order_21rocsparse_index_base_.has_recursion, 0
	.set _ZN9rocsparse31csrmmnn_row_split_shared_kernelILj256ELj8EdlidddEEvNS_24const_host_device_scalarIT1_EES3_bbbT3_S4_llPKT2_PKS4_PKT4_PKT5_llPT6_ll16rocsparse_order_21rocsparse_index_base_.has_indirect_call, 0
	.section	.AMDGPU.csdata,"",@progbits
; Kernel info:
; codeLenInByte = 2092
; TotalNumSgprs: 25
; NumVgprs: 48
; ScratchSize: 0
; MemoryBound: 0
; FloatMode: 240
; IeeeMode: 1
; LDSByteSize: 3072 bytes/workgroup (compile time only)
; SGPRBlocks: 0
; VGPRBlocks: 5
; NumSGPRsForWavesPerEU: 25
; NumVGPRsForWavesPerEU: 48
; Occupancy: 16
; WaveLimiterHint : 1
; COMPUTE_PGM_RSRC2:SCRATCH_EN: 0
; COMPUTE_PGM_RSRC2:USER_SGPR: 2
; COMPUTE_PGM_RSRC2:TRAP_HANDLER: 0
; COMPUTE_PGM_RSRC2:TGID_X_EN: 1
; COMPUTE_PGM_RSRC2:TGID_Y_EN: 1
; COMPUTE_PGM_RSRC2:TGID_Z_EN: 1
; COMPUTE_PGM_RSRC2:TIDIG_COMP_CNT: 0
	.section	.text._ZN9rocsparse31csrmmnn_row_split_shared_kernelILj256ELj8EdlldddEEvNS_24const_host_device_scalarIT1_EES3_bbbT3_S4_llPKT2_PKS4_PKT4_PKT5_llPT6_ll16rocsparse_order_21rocsparse_index_base_,"axG",@progbits,_ZN9rocsparse31csrmmnn_row_split_shared_kernelILj256ELj8EdlldddEEvNS_24const_host_device_scalarIT1_EES3_bbbT3_S4_llPKT2_PKS4_PKT4_PKT5_llPT6_ll16rocsparse_order_21rocsparse_index_base_,comdat
	.protected	_ZN9rocsparse31csrmmnn_row_split_shared_kernelILj256ELj8EdlldddEEvNS_24const_host_device_scalarIT1_EES3_bbbT3_S4_llPKT2_PKS4_PKT4_PKT5_llPT6_ll16rocsparse_order_21rocsparse_index_base_ ; -- Begin function _ZN9rocsparse31csrmmnn_row_split_shared_kernelILj256ELj8EdlldddEEvNS_24const_host_device_scalarIT1_EES3_bbbT3_S4_llPKT2_PKS4_PKT4_PKT5_llPT6_ll16rocsparse_order_21rocsparse_index_base_
	.globl	_ZN9rocsparse31csrmmnn_row_split_shared_kernelILj256ELj8EdlldddEEvNS_24const_host_device_scalarIT1_EES3_bbbT3_S4_llPKT2_PKS4_PKT4_PKT5_llPT6_ll16rocsparse_order_21rocsparse_index_base_
	.p2align	8
	.type	_ZN9rocsparse31csrmmnn_row_split_shared_kernelILj256ELj8EdlldddEEvNS_24const_host_device_scalarIT1_EES3_bbbT3_S4_llPKT2_PKS4_PKT4_PKT5_llPT6_ll16rocsparse_order_21rocsparse_index_base_,@function
_ZN9rocsparse31csrmmnn_row_split_shared_kernelILj256ELj8EdlldddEEvNS_24const_host_device_scalarIT1_EES3_bbbT3_S4_llPKT2_PKS4_PKT4_PKT5_llPT6_ll16rocsparse_order_21rocsparse_index_base_: ; @_ZN9rocsparse31csrmmnn_row_split_shared_kernelILj256ELj8EdlldddEEvNS_24const_host_device_scalarIT1_EES3_bbbT3_S4_llPKT2_PKS4_PKT4_PKT5_llPT6_ll16rocsparse_order_21rocsparse_index_base_
; %bb.0:
	s_clause 0x1
	s_load_b32 s2, s[0:1], 0x10
	s_load_b128 s[4:7], s[0:1], 0x0
	s_wait_kmcnt 0x0
	s_bitcmp1_b32 s2, 0
	v_dual_mov_b32 v12, s5 :: v_dual_mov_b32 v11, s4
	s_cselect_b32 s2, -1, 0
	s_delay_alu instid0(SALU_CYCLE_1)
	s_and_b32 vcc_lo, exec_lo, s2
	s_xor_b32 s2, s2, -1
	s_cbranch_vccnz .LBB5_2
; %bb.1:
	v_dual_mov_b32 v1, s4 :: v_dual_mov_b32 v2, s5
	flat_load_b64 v[11:12], v[1:2]
.LBB5_2:
	v_dual_mov_b32 v5, s6 :: v_dual_mov_b32 v6, s7
	s_and_not1_b32 vcc_lo, exec_lo, s2
	s_cbranch_vccnz .LBB5_4
; %bb.3:
	v_dual_mov_b32 v1, s6 :: v_dual_mov_b32 v2, s7
	flat_load_b64 v[5:6], v[1:2]
.LBB5_4:
	s_wait_loadcnt_dscnt 0x0
	v_cmp_neq_f64_e32 vcc_lo, 0, v[11:12]
	v_cmp_neq_f64_e64 s2, 1.0, v[5:6]
	s_or_b32 s2, vcc_lo, s2
	s_delay_alu instid0(SALU_CYCLE_1)
	s_and_saveexec_b32 s3, s2
	s_cbranch_execz .LBB5_25
; %bb.5:
	s_load_b512 s[4:19], s[0:1], 0x18
	v_lshl_or_b32 v1, ttmp9, 8, v0
	v_mov_b32_e32 v10, 0
	s_delay_alu instid0(VALU_DEP_2) | instskip(SKIP_1) | instid1(VALU_DEP_1)
	v_lshrrev_b32_e32 v9, 3, v1
	s_wait_kmcnt 0x0
	v_cmp_gt_i64_e32 vcc_lo, s[4:5], v[9:10]
	s_and_b32 exec_lo, exec_lo, vcc_lo
	s_cbranch_execz .LBB5_25
; %bb.6:
	s_mov_b32 s3, 0
	s_lshr_b32 s2, ttmp7, 16
	v_lshlrev_b32_e32 v23, 3, v9
	s_mul_u64 s[4:5], s[8:9], s[2:3]
	v_dual_mov_b32 v13, 0 :: v_dual_and_b32 v24, 7, v0
	s_wait_alu 0xfffe
	s_lshl_b64 s[4:5], s[4:5], 3
	v_mov_b32_e32 v14, 0
	s_wait_alu 0xfffe
	s_add_nc_u64 s[4:5], s[12:13], s[4:5]
	v_mov_b32_e32 v8, v10
	global_load_b128 v[1:4], v23, s[4:5]
	s_clause 0x1
	s_load_b256 s[20:27], s[0:1], 0x58
	s_load_b128 s[28:31], s[0:1], 0x78
	s_and_b32 s0, ttmp7, 0xffff
	s_mov_b32 s4, exec_lo
	s_wait_alu 0xfffe
	v_lshl_or_b32 v7, s0, 3, v24
	s_wait_loadcnt 0x0
	v_cmpx_lt_i64_e64 v[1:2], v[3:4]
	s_cbranch_execz .LBB5_14
; %bb.7:
	s_wait_kmcnt 0x0
	v_mad_co_u64_u32 v[13:14], null, s20, v7, 0
	v_lshlrev_b32_e32 v10, 3, v0
	v_mad_co_u64_u32 v[15:16], null, s10, s2, v[1:2]
	s_mul_u64 s[8:9], s[22:23], s[2:3]
	v_sub_co_u32 v3, vcc_lo, v3, s31
	v_mov_b32_e32 v0, v14
	v_subrev_co_ci_u32_e64 v4, null, 0, v4, vcc_lo
	v_add_co_u32 v15, s0, v15, v24
	s_delay_alu instid0(VALU_DEP_3)
	v_mad_co_u64_u32 v[17:18], null, s21, v7, v[0:1]
	v_sub_co_u32 v0, vcc_lo, v1, s31
	s_wait_alu 0xfffd
	v_subrev_co_ci_u32_e64 v1, null, 0, v2, vcc_lo
	v_lshlrev_b32_e32 v18, 3, v24
	s_mov_b32 s5, s3
	s_delay_alu instid0(VALU_DEP_4) | instskip(SKIP_2) | instid1(VALU_DEP_3)
	v_mov_b32_e32 v14, v17
	v_mad_co_u64_u32 v[16:17], null, s11, s2, v[16:17]
	v_cmp_gt_i64_e32 vcc_lo, s[6:7], v[7:8]
	v_lshlrev_b64_e32 v[13:14], 3, v[13:14]
	s_delay_alu instid0(VALU_DEP_3) | instskip(SKIP_2) | instid1(VALU_DEP_2)
	v_add_co_ci_u32_e64 v16, null, 0, v16, s0
	v_sub_co_u32 v15, s0, v15, s31
	s_wait_alu 0xf1ff
	v_subrev_co_ci_u32_e64 v16, null, 0, v16, s0
	s_delay_alu instid0(VALU_DEP_4)
	v_add_co_u32 v13, s0, s18, v13
	s_wait_alu 0xf1ff
	v_add_co_ci_u32_e64 v14, null, s19, v14, s0
	s_lshl_b64 s[0:1], s[8:9], 3
	s_mov_b32 s8, s31
	s_wait_alu 0xfffe
	v_add_co_u32 v27, s0, v13, s0
	s_wait_alu 0xf1ff
	v_add_co_ci_u32_e64 v28, null, s1, v14, s0
	v_dual_mov_b32 v13, 0 :: v_dual_and_b32 v10, 0x7c0, v10
	v_mov_b32_e32 v14, 0
	s_delay_alu instid0(VALU_DEP_2) | instskip(SKIP_1) | instid1(VALU_DEP_2)
	v_or_b32_e32 v2, 0x800, v10
	v_or_b32_e32 v25, v10, v18
	;; [unrolled: 1-line block ×3, first 2 shown]
	v_lshlrev_b64_e32 v[17:18], 3, v[15:16]
	s_delay_alu instid0(VALU_DEP_1) | instskip(SKIP_1) | instid1(VALU_DEP_2)
	v_add_co_u32 v15, s0, s14, v17
	s_wait_alu 0xf1ff
	v_add_co_ci_u32_e64 v16, null, s15, v18, s0
	v_add_co_u32 v17, s0, s16, v17
	s_wait_alu 0xf1ff
	v_add_co_ci_u32_e64 v18, null, s17, v18, s0
	s_branch .LBB5_9
.LBB5_8:                                ;   in Loop: Header=BB5_9 Depth=1
	s_wait_alu 0xfffe
	s_or_b32 exec_lo, exec_lo, s1
	v_add_co_u32 v0, s0, v0, 8
	s_wait_alu 0xf1ff
	v_add_co_ci_u32_e64 v1, null, 0, v1, s0
	v_add_co_u32 v15, s0, v15, 64
	s_wait_alu 0xf1ff
	v_add_co_ci_u32_e64 v16, null, 0, v16, s0
	s_delay_alu instid0(VALU_DEP_3)
	v_cmp_ge_i64_e64 s0, v[0:1], v[3:4]
	v_add_co_u32 v17, s1, v17, 64
	s_wait_alu 0xf1ff
	v_add_co_ci_u32_e64 v18, null, 0, v18, s1
	s_or_b32 s5, s0, s5
	s_wait_alu 0xfffe
	s_and_not1_b32 exec_lo, exec_lo, s5
	s_cbranch_execz .LBB5_13
.LBB5_9:                                ; =>This Inner Loop Header: Depth=1
	v_add_co_u32 v21, s0, v24, v0
	s_wait_alu 0xf1ff
	v_add_co_ci_u32_e64 v22, null, 0, v1, s0
	v_mov_b32_e32 v19, 0
	v_mov_b32_e32 v20, 0
	s_delay_alu instid0(VALU_DEP_3)
	v_cmp_lt_i64_e64 s0, v[21:22], v[3:4]
	v_mov_b32_e32 v21, 0
	v_mov_b32_e32 v22, 0
	s_barrier_signal -1
	s_barrier_wait -1
	global_inv scope:SCOPE_SE
	s_and_saveexec_b32 s1, s0
	s_cbranch_execz .LBB5_11
; %bb.10:                               ;   in Loop: Header=BB5_9 Depth=1
	global_load_b64 v[19:20], v[15:16], off
	global_load_b64 v[21:22], v[17:18], off
	s_wait_loadcnt 0x1
	v_sub_co_u32 v19, s0, v19, s8
	s_wait_alu 0xf1ff
	v_subrev_co_ci_u32_e64 v20, null, 0, v20, s0
.LBB5_11:                               ;   in Loop: Header=BB5_9 Depth=1
	s_wait_alu 0xfffe
	s_or_b32 exec_lo, exec_lo, s1
	ds_store_b64 v25, v[19:20]
	s_wait_loadcnt 0x0
	ds_store_b64 v26, v[21:22]
	s_wait_dscnt 0x0
	s_barrier_signal -1
	s_barrier_wait -1
	global_inv scope:SCOPE_SE
	s_and_saveexec_b32 s1, vcc_lo
	s_cbranch_execz .LBB5_8
; %bb.12:                               ;   in Loop: Header=BB5_9 Depth=1
	ds_load_b128 v[19:22], v10
	ds_load_b128 v[29:32], v10 offset:16
	s_wait_dscnt 0x1
	v_lshlrev_b64_e32 v[19:20], 3, v[19:20]
	s_delay_alu instid0(VALU_DEP_1) | instskip(SKIP_1) | instid1(VALU_DEP_2)
	v_add_co_u32 v19, s0, v27, v19
	s_wait_alu 0xf1ff
	v_add_co_ci_u32_e64 v20, null, v28, v20, s0
	global_load_b64 v[33:34], v[19:20], off
	v_lshlrev_b64_e32 v[19:20], 3, v[21:22]
	s_delay_alu instid0(VALU_DEP_1) | instskip(SKIP_1) | instid1(VALU_DEP_2)
	v_add_co_u32 v19, s0, v27, v19
	s_wait_alu 0xf1ff
	v_add_co_ci_u32_e64 v20, null, v28, v20, s0
	global_load_b64 v[35:36], v[19:20], off
	s_wait_dscnt 0x0
	v_lshlrev_b64_e32 v[19:20], 3, v[29:30]
	s_delay_alu instid0(VALU_DEP_1) | instskip(SKIP_1) | instid1(VALU_DEP_2)
	v_add_co_u32 v19, s0, v27, v19
	s_wait_alu 0xf1ff
	v_add_co_ci_u32_e64 v20, null, v28, v20, s0
	global_load_b64 v[37:38], v[19:20], off
	v_lshlrev_b64_e32 v[19:20], 3, v[31:32]
	s_delay_alu instid0(VALU_DEP_1) | instskip(SKIP_1) | instid1(VALU_DEP_2)
	v_add_co_u32 v19, s0, v27, v19
	s_wait_alu 0xf1ff
	v_add_co_ci_u32_e64 v20, null, v28, v20, s0
	global_load_b64 v[39:40], v[19:20], off
	ds_load_b128 v[19:22], v10 offset:32
	ds_load_b128 v[29:32], v10 offset:48
	s_wait_dscnt 0x1
	v_lshlrev_b64_e32 v[19:20], 3, v[19:20]
	s_delay_alu instid0(VALU_DEP_1) | instskip(SKIP_1) | instid1(VALU_DEP_2)
	v_add_co_u32 v19, s0, v27, v19
	s_wait_alu 0xf1ff
	v_add_co_ci_u32_e64 v20, null, v28, v20, s0
	global_load_b64 v[41:42], v[19:20], off
	v_lshlrev_b64_e32 v[19:20], 3, v[21:22]
	s_delay_alu instid0(VALU_DEP_1) | instskip(SKIP_1) | instid1(VALU_DEP_2)
	v_add_co_u32 v19, s0, v27, v19
	s_wait_alu 0xf1ff
	v_add_co_ci_u32_e64 v20, null, v28, v20, s0
	global_load_b64 v[43:44], v[19:20], off
	s_wait_dscnt 0x0
	v_lshlrev_b64_e32 v[19:20], 3, v[29:30]
	s_delay_alu instid0(VALU_DEP_1) | instskip(SKIP_1) | instid1(VALU_DEP_2)
	v_add_co_u32 v19, s0, v27, v19
	s_wait_alu 0xf1ff
	v_add_co_ci_u32_e64 v20, null, v28, v20, s0
	global_load_b64 v[45:46], v[19:20], off
	v_lshlrev_b64_e32 v[19:20], 3, v[31:32]
	s_delay_alu instid0(VALU_DEP_1) | instskip(SKIP_1) | instid1(VALU_DEP_2)
	v_add_co_u32 v19, s0, v27, v19
	s_wait_alu 0xf1ff
	v_add_co_ci_u32_e64 v20, null, v28, v20, s0
	global_load_b64 v[47:48], v[19:20], off
	ds_load_b128 v[19:22], v2
	ds_load_b128 v[29:32], v2 offset:16
	s_wait_loadcnt_dscnt 0x701
	v_fma_f64 v[13:14], v[19:20], v[33:34], v[13:14]
	s_wait_loadcnt 0x6
	s_delay_alu instid0(VALU_DEP_1) | instskip(SKIP_1) | instid1(VALU_DEP_1)
	v_fma_f64 v[13:14], v[21:22], v[35:36], v[13:14]
	s_wait_loadcnt_dscnt 0x500
	v_fma_f64 v[13:14], v[29:30], v[37:38], v[13:14]
	s_wait_loadcnt 0x4
	s_delay_alu instid0(VALU_DEP_1)
	v_fma_f64 v[13:14], v[31:32], v[39:40], v[13:14]
	ds_load_b128 v[19:22], v2 offset:32
	ds_load_b128 v[29:32], v2 offset:48
	s_wait_loadcnt_dscnt 0x301
	v_fma_f64 v[13:14], v[19:20], v[41:42], v[13:14]
	s_wait_loadcnt 0x2
	s_delay_alu instid0(VALU_DEP_1) | instskip(SKIP_1) | instid1(VALU_DEP_1)
	v_fma_f64 v[13:14], v[21:22], v[43:44], v[13:14]
	s_wait_loadcnt_dscnt 0x100
	v_fma_f64 v[13:14], v[29:30], v[45:46], v[13:14]
	s_wait_loadcnt 0x0
	s_delay_alu instid0(VALU_DEP_1)
	v_fma_f64 v[13:14], v[31:32], v[47:48], v[13:14]
	s_branch .LBB5_8
.LBB5_13:
	s_or_b32 exec_lo, exec_lo, s5
.LBB5_14:
	s_delay_alu instid0(SALU_CYCLE_1)
	s_or_b32 exec_lo, exec_lo, s4
	v_cmp_gt_i64_e32 vcc_lo, s[6:7], v[7:8]
	s_and_b32 exec_lo, exec_lo, vcc_lo
	s_cbranch_execz .LBB5_25
; %bb.15:
	v_mul_f64_e32 v[0:1], v[11:12], v[13:14]
	s_wait_kmcnt 0x0
	s_cmp_lg_u32 s30, 1
	s_mul_u64 s[0:1], s[28:29], s[2:3]
	s_cselect_b32 s4, -1, 0
	s_mov_b32 s2, exec_lo
	v_cmpx_neq_f64_e32 0, v[5:6]
	s_wait_alu 0xfffe
	s_xor_b32 s2, exec_lo, s2
	s_cbranch_execz .LBB5_20
; %bb.16:
	s_and_b32 vcc_lo, exec_lo, s4
	s_mov_b32 s3, -1
	s_wait_alu 0xfffe
	s_cbranch_vccz .LBB5_18
; %bb.17:
	v_mad_co_u64_u32 v[2:3], null, s26, v9, 0
	s_lshl_b64 s[6:7], s[0:1], 3
	s_mov_b32 s3, 0
	v_mad_co_u64_u32 v[3:4], null, s27, v9, v[3:4]
	v_lshlrev_b32_e32 v4, 3, v7
	s_delay_alu instid0(VALU_DEP_2) | instskip(NEXT) | instid1(VALU_DEP_1)
	v_lshlrev_b64_e32 v[2:3], 3, v[2:3]
	v_add_co_u32 v2, vcc_lo, s24, v2
	s_wait_alu 0xfffd
	s_delay_alu instid0(VALU_DEP_2) | instskip(NEXT) | instid1(VALU_DEP_2)
	v_add_co_ci_u32_e64 v3, null, s25, v3, vcc_lo
	v_add_co_u32 v2, vcc_lo, v2, v4
	s_wait_alu 0xfffd
	s_delay_alu instid0(VALU_DEP_2) | instskip(SKIP_1) | instid1(VALU_DEP_2)
	v_add_co_ci_u32_e64 v3, null, 0, v3, vcc_lo
	s_wait_alu 0xfffe
	v_add_co_u32 v2, vcc_lo, v2, s6
	s_wait_alu 0xfffd
	s_delay_alu instid0(VALU_DEP_2)
	v_add_co_ci_u32_e64 v3, null, s7, v3, vcc_lo
	global_load_b64 v[8:9], v[2:3], off
	s_wait_loadcnt 0x0
	v_fma_f64 v[8:9], v[5:6], v[8:9], v[0:1]
	global_store_b64 v[2:3], v[8:9], off
.LBB5_18:
	s_and_not1_b32 vcc_lo, exec_lo, s3
                                        ; implicit-def: $vgpr9_vgpr10
	s_wait_alu 0xfffe
	s_cbranch_vccnz .LBB5_20
; %bb.19:
	v_mad_co_u64_u32 v[2:3], null, s26, v7, 0
	s_lshl_b64 s[6:7], s[0:1], 3
                                        ; implicit-def: $vgpr9_vgpr10
	v_mad_co_u64_u32 v[3:4], null, s27, v7, v[3:4]
	s_delay_alu instid0(VALU_DEP_1) | instskip(NEXT) | instid1(VALU_DEP_1)
	v_lshlrev_b64_e32 v[2:3], 3, v[2:3]
	v_add_co_u32 v2, vcc_lo, s24, v2
	s_wait_alu 0xfffd
	s_delay_alu instid0(VALU_DEP_2) | instskip(NEXT) | instid1(VALU_DEP_2)
	v_add_co_ci_u32_e64 v3, null, s25, v3, vcc_lo
	v_add_co_u32 v2, vcc_lo, v2, v23
	s_wait_alu 0xfffd
	s_delay_alu instid0(VALU_DEP_2) | instskip(SKIP_1) | instid1(VALU_DEP_2)
	v_add_co_ci_u32_e64 v3, null, 0, v3, vcc_lo
                                        ; implicit-def: $vgpr23
	s_wait_alu 0xfffe
	v_add_co_u32 v2, vcc_lo, v2, s6
	s_wait_alu 0xfffd
	s_delay_alu instid0(VALU_DEP_2)
	v_add_co_ci_u32_e64 v3, null, s7, v3, vcc_lo
	global_load_b64 v[7:8], v[2:3], off
	s_wait_loadcnt 0x0
	v_fma_f64 v[0:1], v[5:6], v[7:8], v[0:1]
                                        ; implicit-def: $vgpr7_vgpr8
	global_store_b64 v[2:3], v[0:1], off
                                        ; implicit-def: $vgpr0_vgpr1
.LBB5_20:
	s_wait_alu 0xfffe
	s_and_not1_saveexec_b32 s2, s2
	s_cbranch_execz .LBB5_25
; %bb.21:
	s_and_b32 vcc_lo, exec_lo, s4
	s_mov_b32 s2, -1
	s_wait_alu 0xfffe
	s_cbranch_vccz .LBB5_23
; %bb.22:
	v_mad_co_u64_u32 v[2:3], null, s26, v9, 0
	s_lshl_b64 s[2:3], s[0:1], 3
	v_mad_co_u64_u32 v[3:4], null, s27, v9, v[3:4]
	v_lshlrev_b32_e32 v4, 3, v7
	s_delay_alu instid0(VALU_DEP_2) | instskip(NEXT) | instid1(VALU_DEP_1)
	v_lshlrev_b64_e32 v[2:3], 3, v[2:3]
	v_add_co_u32 v2, vcc_lo, s24, v2
	s_wait_alu 0xfffd
	s_delay_alu instid0(VALU_DEP_2) | instskip(NEXT) | instid1(VALU_DEP_2)
	v_add_co_ci_u32_e64 v3, null, s25, v3, vcc_lo
	v_add_co_u32 v2, vcc_lo, v2, v4
	s_wait_alu 0xfffd
	s_delay_alu instid0(VALU_DEP_2) | instskip(SKIP_1) | instid1(VALU_DEP_2)
	v_add_co_ci_u32_e64 v3, null, 0, v3, vcc_lo
	s_wait_alu 0xfffe
	v_add_co_u32 v2, vcc_lo, v2, s2
	s_wait_alu 0xfffd
	s_delay_alu instid0(VALU_DEP_2)
	v_add_co_ci_u32_e64 v3, null, s3, v3, vcc_lo
	s_mov_b32 s2, 0
	global_store_b64 v[2:3], v[0:1], off
.LBB5_23:
	s_wait_alu 0xfffe
	s_and_not1_b32 vcc_lo, exec_lo, s2
	s_wait_alu 0xfffe
	s_cbranch_vccnz .LBB5_25
; %bb.24:
	v_mad_co_u64_u32 v[2:3], null, s26, v7, 0
	s_lshl_b64 s[0:1], s[0:1], 3
	v_mad_co_u64_u32 v[3:4], null, s27, v7, v[3:4]
	s_delay_alu instid0(VALU_DEP_1) | instskip(NEXT) | instid1(VALU_DEP_1)
	v_lshlrev_b64_e32 v[2:3], 3, v[2:3]
	v_add_co_u32 v2, vcc_lo, s24, v2
	s_wait_alu 0xfffd
	s_delay_alu instid0(VALU_DEP_2) | instskip(NEXT) | instid1(VALU_DEP_2)
	v_add_co_ci_u32_e64 v3, null, s25, v3, vcc_lo
	v_add_co_u32 v2, vcc_lo, v2, v23
	s_wait_alu 0xfffd
	s_delay_alu instid0(VALU_DEP_2) | instskip(SKIP_1) | instid1(VALU_DEP_2)
	v_add_co_ci_u32_e64 v3, null, 0, v3, vcc_lo
	s_wait_alu 0xfffe
	v_add_co_u32 v2, vcc_lo, v2, s0
	s_wait_alu 0xfffd
	s_delay_alu instid0(VALU_DEP_2)
	v_add_co_ci_u32_e64 v3, null, s1, v3, vcc_lo
	global_store_b64 v[2:3], v[0:1], off
.LBB5_25:
	s_endpgm
	.section	.rodata,"a",@progbits
	.p2align	6, 0x0
	.amdhsa_kernel _ZN9rocsparse31csrmmnn_row_split_shared_kernelILj256ELj8EdlldddEEvNS_24const_host_device_scalarIT1_EES3_bbbT3_S4_llPKT2_PKS4_PKT4_PKT5_llPT6_ll16rocsparse_order_21rocsparse_index_base_
		.amdhsa_group_segment_fixed_size 4096
		.amdhsa_private_segment_fixed_size 0
		.amdhsa_kernarg_size 136
		.amdhsa_user_sgpr_count 2
		.amdhsa_user_sgpr_dispatch_ptr 0
		.amdhsa_user_sgpr_queue_ptr 0
		.amdhsa_user_sgpr_kernarg_segment_ptr 1
		.amdhsa_user_sgpr_dispatch_id 0
		.amdhsa_user_sgpr_private_segment_size 0
		.amdhsa_wavefront_size32 1
		.amdhsa_uses_dynamic_stack 0
		.amdhsa_enable_private_segment 0
		.amdhsa_system_sgpr_workgroup_id_x 1
		.amdhsa_system_sgpr_workgroup_id_y 1
		.amdhsa_system_sgpr_workgroup_id_z 1
		.amdhsa_system_sgpr_workgroup_info 0
		.amdhsa_system_vgpr_workitem_id 0
		.amdhsa_next_free_vgpr 49
		.amdhsa_next_free_sgpr 32
		.amdhsa_reserve_vcc 1
		.amdhsa_float_round_mode_32 0
		.amdhsa_float_round_mode_16_64 0
		.amdhsa_float_denorm_mode_32 3
		.amdhsa_float_denorm_mode_16_64 3
		.amdhsa_fp16_overflow 0
		.amdhsa_workgroup_processor_mode 1
		.amdhsa_memory_ordered 1
		.amdhsa_forward_progress 1
		.amdhsa_inst_pref_size 17
		.amdhsa_round_robin_scheduling 0
		.amdhsa_exception_fp_ieee_invalid_op 0
		.amdhsa_exception_fp_denorm_src 0
		.amdhsa_exception_fp_ieee_div_zero 0
		.amdhsa_exception_fp_ieee_overflow 0
		.amdhsa_exception_fp_ieee_underflow 0
		.amdhsa_exception_fp_ieee_inexact 0
		.amdhsa_exception_int_div_zero 0
	.end_amdhsa_kernel
	.section	.text._ZN9rocsparse31csrmmnn_row_split_shared_kernelILj256ELj8EdlldddEEvNS_24const_host_device_scalarIT1_EES3_bbbT3_S4_llPKT2_PKS4_PKT4_PKT5_llPT6_ll16rocsparse_order_21rocsparse_index_base_,"axG",@progbits,_ZN9rocsparse31csrmmnn_row_split_shared_kernelILj256ELj8EdlldddEEvNS_24const_host_device_scalarIT1_EES3_bbbT3_S4_llPKT2_PKS4_PKT4_PKT5_llPT6_ll16rocsparse_order_21rocsparse_index_base_,comdat
.Lfunc_end5:
	.size	_ZN9rocsparse31csrmmnn_row_split_shared_kernelILj256ELj8EdlldddEEvNS_24const_host_device_scalarIT1_EES3_bbbT3_S4_llPKT2_PKS4_PKT4_PKT5_llPT6_ll16rocsparse_order_21rocsparse_index_base_, .Lfunc_end5-_ZN9rocsparse31csrmmnn_row_split_shared_kernelILj256ELj8EdlldddEEvNS_24const_host_device_scalarIT1_EES3_bbbT3_S4_llPKT2_PKS4_PKT4_PKT5_llPT6_ll16rocsparse_order_21rocsparse_index_base_
                                        ; -- End function
	.set _ZN9rocsparse31csrmmnn_row_split_shared_kernelILj256ELj8EdlldddEEvNS_24const_host_device_scalarIT1_EES3_bbbT3_S4_llPKT2_PKS4_PKT4_PKT5_llPT6_ll16rocsparse_order_21rocsparse_index_base_.num_vgpr, 49
	.set _ZN9rocsparse31csrmmnn_row_split_shared_kernelILj256ELj8EdlldddEEvNS_24const_host_device_scalarIT1_EES3_bbbT3_S4_llPKT2_PKS4_PKT4_PKT5_llPT6_ll16rocsparse_order_21rocsparse_index_base_.num_agpr, 0
	.set _ZN9rocsparse31csrmmnn_row_split_shared_kernelILj256ELj8EdlldddEEvNS_24const_host_device_scalarIT1_EES3_bbbT3_S4_llPKT2_PKS4_PKT4_PKT5_llPT6_ll16rocsparse_order_21rocsparse_index_base_.numbered_sgpr, 32
	.set _ZN9rocsparse31csrmmnn_row_split_shared_kernelILj256ELj8EdlldddEEvNS_24const_host_device_scalarIT1_EES3_bbbT3_S4_llPKT2_PKS4_PKT4_PKT5_llPT6_ll16rocsparse_order_21rocsparse_index_base_.num_named_barrier, 0
	.set _ZN9rocsparse31csrmmnn_row_split_shared_kernelILj256ELj8EdlldddEEvNS_24const_host_device_scalarIT1_EES3_bbbT3_S4_llPKT2_PKS4_PKT4_PKT5_llPT6_ll16rocsparse_order_21rocsparse_index_base_.private_seg_size, 0
	.set _ZN9rocsparse31csrmmnn_row_split_shared_kernelILj256ELj8EdlldddEEvNS_24const_host_device_scalarIT1_EES3_bbbT3_S4_llPKT2_PKS4_PKT4_PKT5_llPT6_ll16rocsparse_order_21rocsparse_index_base_.uses_vcc, 1
	.set _ZN9rocsparse31csrmmnn_row_split_shared_kernelILj256ELj8EdlldddEEvNS_24const_host_device_scalarIT1_EES3_bbbT3_S4_llPKT2_PKS4_PKT4_PKT5_llPT6_ll16rocsparse_order_21rocsparse_index_base_.uses_flat_scratch, 0
	.set _ZN9rocsparse31csrmmnn_row_split_shared_kernelILj256ELj8EdlldddEEvNS_24const_host_device_scalarIT1_EES3_bbbT3_S4_llPKT2_PKS4_PKT4_PKT5_llPT6_ll16rocsparse_order_21rocsparse_index_base_.has_dyn_sized_stack, 0
	.set _ZN9rocsparse31csrmmnn_row_split_shared_kernelILj256ELj8EdlldddEEvNS_24const_host_device_scalarIT1_EES3_bbbT3_S4_llPKT2_PKS4_PKT4_PKT5_llPT6_ll16rocsparse_order_21rocsparse_index_base_.has_recursion, 0
	.set _ZN9rocsparse31csrmmnn_row_split_shared_kernelILj256ELj8EdlldddEEvNS_24const_host_device_scalarIT1_EES3_bbbT3_S4_llPKT2_PKS4_PKT4_PKT5_llPT6_ll16rocsparse_order_21rocsparse_index_base_.has_indirect_call, 0
	.section	.AMDGPU.csdata,"",@progbits
; Kernel info:
; codeLenInByte = 2068
; TotalNumSgprs: 34
; NumVgprs: 49
; ScratchSize: 0
; MemoryBound: 0
; FloatMode: 240
; IeeeMode: 1
; LDSByteSize: 4096 bytes/workgroup (compile time only)
; SGPRBlocks: 0
; VGPRBlocks: 6
; NumSGPRsForWavesPerEU: 34
; NumVGPRsForWavesPerEU: 49
; Occupancy: 16
; WaveLimiterHint : 0
; COMPUTE_PGM_RSRC2:SCRATCH_EN: 0
; COMPUTE_PGM_RSRC2:USER_SGPR: 2
; COMPUTE_PGM_RSRC2:TRAP_HANDLER: 0
; COMPUTE_PGM_RSRC2:TGID_X_EN: 1
; COMPUTE_PGM_RSRC2:TGID_Y_EN: 1
; COMPUTE_PGM_RSRC2:TGID_Z_EN: 1
; COMPUTE_PGM_RSRC2:TIDIG_COMP_CNT: 0
	.section	.text._ZN9rocsparse31csrmmnn_row_split_shared_kernelILj256ELj8E21rocsparse_complex_numIfEiiS2_S2_S2_EEvNS_24const_host_device_scalarIT1_EES5_bbbT3_S6_llPKT2_PKS6_PKT4_PKT5_llPT6_ll16rocsparse_order_21rocsparse_index_base_,"axG",@progbits,_ZN9rocsparse31csrmmnn_row_split_shared_kernelILj256ELj8E21rocsparse_complex_numIfEiiS2_S2_S2_EEvNS_24const_host_device_scalarIT1_EES5_bbbT3_S6_llPKT2_PKS6_PKT4_PKT5_llPT6_ll16rocsparse_order_21rocsparse_index_base_,comdat
	.protected	_ZN9rocsparse31csrmmnn_row_split_shared_kernelILj256ELj8E21rocsparse_complex_numIfEiiS2_S2_S2_EEvNS_24const_host_device_scalarIT1_EES5_bbbT3_S6_llPKT2_PKS6_PKT4_PKT5_llPT6_ll16rocsparse_order_21rocsparse_index_base_ ; -- Begin function _ZN9rocsparse31csrmmnn_row_split_shared_kernelILj256ELj8E21rocsparse_complex_numIfEiiS2_S2_S2_EEvNS_24const_host_device_scalarIT1_EES5_bbbT3_S6_llPKT2_PKS6_PKT4_PKT5_llPT6_ll16rocsparse_order_21rocsparse_index_base_
	.globl	_ZN9rocsparse31csrmmnn_row_split_shared_kernelILj256ELj8E21rocsparse_complex_numIfEiiS2_S2_S2_EEvNS_24const_host_device_scalarIT1_EES5_bbbT3_S6_llPKT2_PKS6_PKT4_PKT5_llPT6_ll16rocsparse_order_21rocsparse_index_base_
	.p2align	8
	.type	_ZN9rocsparse31csrmmnn_row_split_shared_kernelILj256ELj8E21rocsparse_complex_numIfEiiS2_S2_S2_EEvNS_24const_host_device_scalarIT1_EES5_bbbT3_S6_llPKT2_PKS6_PKT4_PKT5_llPT6_ll16rocsparse_order_21rocsparse_index_base_,@function
_ZN9rocsparse31csrmmnn_row_split_shared_kernelILj256ELj8E21rocsparse_complex_numIfEiiS2_S2_S2_EEvNS_24const_host_device_scalarIT1_EES5_bbbT3_S6_llPKT2_PKS6_PKT4_PKT5_llPT6_ll16rocsparse_order_21rocsparse_index_base_: ; @_ZN9rocsparse31csrmmnn_row_split_shared_kernelILj256ELj8E21rocsparse_complex_numIfEiiS2_S2_S2_EEvNS_24const_host_device_scalarIT1_EES5_bbbT3_S6_llPKT2_PKS6_PKT4_PKT5_llPT6_ll16rocsparse_order_21rocsparse_index_base_
; %bb.0:
	s_clause 0x1
	s_load_b32 s3, s[0:1], 0x10
	s_load_b128 s[4:7], s[0:1], 0x0
	s_or_b32 s2, s0, 8
	s_wait_kmcnt 0x0
	s_bitcmp1_b32 s3, 0
	s_cselect_b32 s4, s0, s4
	s_cselect_b32 s5, s1, s5
	s_delay_alu instid0(SALU_CYCLE_1)
	v_dual_mov_b32 v1, s4 :: v_dual_mov_b32 v2, s5
	s_cselect_b32 s2, s2, s6
	s_cselect_b32 s4, s1, s7
	flat_load_b64 v[3:4], v[1:2]
	s_wait_alu 0xfffe
	v_dual_mov_b32 v1, s2 :: v_dual_mov_b32 v2, s4
	flat_load_b64 v[1:2], v[1:2]
	s_wait_loadcnt_dscnt 0x101
	v_cmp_eq_f32_e32 vcc_lo, 0, v3
	v_cmp_eq_f32_e64 s2, 0, v4
	s_and_b32 s5, vcc_lo, s2
	s_mov_b32 s2, -1
	s_wait_alu 0xfffe
	s_and_saveexec_b32 s4, s5
	s_cbranch_execz .LBB6_2
; %bb.1:
	s_wait_loadcnt_dscnt 0x0
	v_cmp_neq_f32_e32 vcc_lo, 1.0, v1
	v_cmp_neq_f32_e64 s2, 0, v2
	s_or_b32 s2, vcc_lo, s2
	s_wait_alu 0xfffe
	s_or_not1_b32 s2, s2, exec_lo
.LBB6_2:
	s_wait_alu 0xfffe
	s_or_b32 exec_lo, exec_lo, s4
	s_and_saveexec_b32 s4, s2
	s_cbranch_execz .LBB6_23
; %bb.3:
	s_load_b96 s[20:22], s[0:1], 0x10
	v_lshl_or_b32 v5, ttmp9, 8, v0
	s_delay_alu instid0(VALU_DEP_1) | instskip(SKIP_1) | instid1(VALU_DEP_1)
	v_lshrrev_b32_e32 v7, 3, v5
	s_wait_kmcnt 0x0
	v_cmp_gt_i32_e32 vcc_lo, s21, v7
	s_and_b32 exec_lo, exec_lo, vcc_lo
	s_cbranch_execz .LBB6_23
; %bb.4:
	s_load_b512 s[4:19], s[0:1], 0x20
	s_mov_b32 s25, 0
	s_lshr_b32 s24, ttmp7, 16
	v_dual_mov_b32 v10, 0 :: v_dual_lshlrev_b32 v5, 2, v7
	v_dual_mov_b32 v18, 0 :: v_dual_and_b32 v9, 7, v0
	s_and_b32 s2, ttmp7, 0xffff
	s_mov_b32 s21, exec_lo
	s_wait_alu 0xfffe
	s_delay_alu instid0(VALU_DEP_1)
	v_lshl_or_b32 v8, s2, 3, v9
	s_wait_kmcnt 0x0
	s_mul_u64 s[4:5], s[4:5], s[24:25]
	s_wait_alu 0xfffe
	s_lshl_b64 s[4:5], s[4:5], 2
	s_wait_alu 0xfffe
	s_add_nc_u64 s[4:5], s[8:9], s[4:5]
	s_load_b64 s[8:9], s[0:1], 0x78
	global_load_b64 v[5:6], v5, s[4:5]
	s_wait_loadcnt 0x0
	v_cmpx_lt_i32_e64 v5, v6
	s_cbranch_execz .LBB6_12
; %bb.5:
	v_mad_co_u64_u32 v[13:14], null, s16, v8, 0
	v_lshrrev_b32_e32 v15, 3, v0
	s_wait_kmcnt 0x0
	v_subrev_nc_u32_e32 v0, s9, v5
	s_bitcmp1_b32 s3, 8
	s_mul_u64 s[4:5], s[18:19], s[24:25]
	s_cselect_b32 s2, -1, 0
	s_bitcmp1_b32 s20, 16
	v_mov_b32_e32 v10, v14
	v_lshl_or_b32 v12, v15, 5, 0x800
	s_cselect_b32 s16, -1, 0
	s_wait_alu 0xfffe
	s_lshl_b64 s[4:5], s[4:5], 3
	v_mov_b32_e32 v18, 0
	v_mad_co_u64_u32 v[10:11], null, s17, v8, v[10:11]
	v_subrev_nc_u32_e32 v11, s9, v6
	v_cmp_gt_i32_e32 vcc_lo, s22, v8
	s_delay_alu instid0(VALU_DEP_3) | instskip(SKIP_1) | instid1(VALU_DEP_2)
	v_mov_b32_e32 v14, v10
	v_mov_b32_e32 v10, 0
	v_lshlrev_b64_e32 v[5:6], 3, v[13:14]
	v_lshlrev_b32_e32 v13, 6, v15
	v_lshl_or_b32 v14, v9, 2, v12
	s_delay_alu instid0(VALU_DEP_2) | instskip(NEXT) | instid1(VALU_DEP_4)
	v_lshl_or_b32 v15, v9, 3, v13
	v_add_co_u32 v5, s3, s14, v5
	s_wait_alu 0xf1ff
	v_add_co_ci_u32_e64 v6, null, s15, v6, s3
	s_wait_alu 0xfffe
	s_delay_alu instid0(VALU_DEP_2) | instskip(SKIP_1) | instid1(VALU_DEP_2)
	v_add_co_u32 v16, s3, v5, s4
	s_wait_alu 0xf1ff
	v_add_co_ci_u32_e64 v17, null, s5, v6, s3
	s_mul_u64 s[4:5], s[6:7], s[24:25]
	s_mov_b32 s6, s25
	s_branch .LBB6_7
.LBB6_6:                                ;   in Loop: Header=BB6_7 Depth=1
	s_or_b32 exec_lo, exec_lo, s7
	v_add_nc_u32_e32 v0, 8, v0
	s_delay_alu instid0(VALU_DEP_1) | instskip(SKIP_1) | instid1(SALU_CYCLE_1)
	v_cmp_ge_i32_e64 s3, v0, v11
	s_or_b32 s6, s3, s6
	s_and_not1_b32 exec_lo, exec_lo, s6
	s_cbranch_execz .LBB6_11
.LBB6_7:                                ; =>This Inner Loop Header: Depth=1
	v_dual_mov_b32 v19, 0 :: v_dual_add_nc_u32 v20, v9, v0
	v_dual_mov_b32 v5, 0 :: v_dual_mov_b32 v6, 0
	s_mov_b32 s7, exec_lo
	s_wait_dscnt 0x0
	s_barrier_signal -1
	s_barrier_wait -1
	global_inv scope:SCOPE_SE
	v_cmpx_lt_i32_e64 v20, v11
	s_cbranch_execz .LBB6_9
; %bb.8:                                ;   in Loop: Header=BB6_7 Depth=1
	v_ashrrev_i32_e32 v6, 31, v20
	s_wait_alu 0xfffe
	v_add_co_u32 v5, s3, s4, v20
	s_wait_alu 0xf1ff
	s_delay_alu instid0(VALU_DEP_2) | instskip(NEXT) | instid1(VALU_DEP_1)
	v_add_co_ci_u32_e64 v6, null, s5, v6, s3
	v_lshlrev_b64_e32 v[19:20], 3, v[5:6]
	v_lshlrev_b64_e32 v[5:6], 2, v[5:6]
	s_delay_alu instid0(VALU_DEP_2) | instskip(SKIP_1) | instid1(VALU_DEP_3)
	v_add_co_u32 v19, s3, s12, v19
	s_wait_alu 0xf1ff
	v_add_co_ci_u32_e64 v20, null, s13, v20, s3
	s_delay_alu instid0(VALU_DEP_3)
	v_add_co_u32 v21, s3, s10, v5
	s_wait_alu 0xf1ff
	v_add_co_ci_u32_e64 v22, null, s11, v6, s3
	global_load_b64 v[5:6], v[19:20], off
	global_load_b32 v19, v[21:22], off
	s_wait_loadcnt 0x1
	v_xor_b32_e32 v20, 0x80000000, v6
	s_wait_loadcnt 0x0
	v_subrev_nc_u32_e32 v19, s9, v19
	s_delay_alu instid0(VALU_DEP_2)
	v_cndmask_b32_e64 v6, v6, v20, s2
.LBB6_9:                                ;   in Loop: Header=BB6_7 Depth=1
	s_or_b32 exec_lo, exec_lo, s7
	ds_store_b32 v14, v19
	ds_store_b64 v15, v[5:6]
	s_wait_loadcnt_dscnt 0x0
	s_barrier_signal -1
	s_barrier_wait -1
	global_inv scope:SCOPE_SE
	s_and_saveexec_b32 s7, vcc_lo
	s_cbranch_execz .LBB6_6
; %bb.10:                               ;   in Loop: Header=BB6_7 Depth=1
	ds_load_b128 v[19:22], v12
	ds_load_b128 v[23:26], v12 offset:16
	s_wait_dscnt 0x1
	v_ashrrev_i32_e32 v6, 31, v19
	v_mov_b32_e32 v5, v19
	v_ashrrev_i32_e32 v28, 31, v20
	s_wait_dscnt 0x0
	v_ashrrev_i32_e32 v32, 31, v24
	s_delay_alu instid0(VALU_DEP_3) | instskip(NEXT) | instid1(VALU_DEP_1)
	v_lshlrev_b64_e32 v[5:6], 3, v[5:6]
	v_add_co_u32 v5, s3, v16, v5
	s_wait_alu 0xf1ff
	s_delay_alu instid0(VALU_DEP_2) | instskip(SKIP_2) | instid1(VALU_DEP_1)
	v_add_co_ci_u32_e64 v6, null, v17, v6, s3
	global_load_b64 v[5:6], v[5:6], off
	v_mov_b32_e32 v27, v20
	v_lshlrev_b64_e32 v[19:20], 3, v[27:28]
	v_ashrrev_i32_e32 v28, 31, v21
	s_delay_alu instid0(VALU_DEP_2) | instskip(SKIP_1) | instid1(VALU_DEP_3)
	v_add_co_u32 v19, s3, v16, v19
	s_wait_alu 0xf1ff
	v_add_co_ci_u32_e64 v20, null, v17, v20, s3
	global_load_b64 v[29:30], v[19:20], off
	v_mov_b32_e32 v27, v21
	v_ashrrev_i32_e32 v21, 31, v22
	s_delay_alu instid0(VALU_DEP_2) | instskip(NEXT) | instid1(VALU_DEP_1)
	v_lshlrev_b64_e32 v[27:28], 3, v[27:28]
	v_add_co_u32 v27, s3, v16, v27
	s_wait_alu 0xf1ff
	s_delay_alu instid0(VALU_DEP_2) | instskip(SKIP_3) | instid1(VALU_DEP_2)
	v_add_co_ci_u32_e64 v28, null, v17, v28, s3
	global_load_b64 v[27:28], v[27:28], off
	v_mov_b32_e32 v20, v22
	v_ashrrev_i32_e32 v22, 31, v23
	v_lshlrev_b64_e32 v[19:20], 3, v[20:21]
	v_mov_b32_e32 v21, v23
	v_mov_b32_e32 v23, v25
	s_delay_alu instid0(VALU_DEP_3) | instskip(SKIP_1) | instid1(VALU_DEP_4)
	v_add_co_u32 v19, s3, v16, v19
	s_wait_alu 0xf1ff
	v_add_co_ci_u32_e64 v20, null, v17, v20, s3
	v_lshlrev_b64_e32 v[21:22], 3, v[21:22]
	global_load_b64 v[33:34], v[19:20], off
	v_add_co_u32 v19, s3, v16, v21
	s_wait_alu 0xf1ff
	v_add_co_ci_u32_e64 v20, null, v17, v22, s3
	s_wait_loadcnt 0x3
	v_cndmask_b32_e64 v6, v6, -v6, s16
	v_mov_b32_e32 v31, v24
	v_ashrrev_i32_e32 v24, 31, v25
	s_delay_alu instid0(VALU_DEP_2)
	v_lshlrev_b64_e32 v[21:22], 3, v[31:32]
	global_load_b64 v[31:32], v[19:20], off
	v_add_co_u32 v19, s3, v16, v21
	s_wait_alu 0xf1ff
	v_add_co_ci_u32_e64 v20, null, v17, v22, s3
	v_lshlrev_b64_e32 v[21:22], 3, v[23:24]
	v_ashrrev_i32_e32 v24, 31, v26
	v_mov_b32_e32 v23, v26
	global_load_b64 v[35:36], v[19:20], off
	v_add_co_u32 v19, s3, v16, v21
	s_wait_alu 0xf1ff
	v_add_co_ci_u32_e64 v20, null, v17, v22, s3
	v_lshlrev_b64_e32 v[21:22], 3, v[23:24]
	global_load_b64 v[37:38], v[19:20], off
	v_add_co_u32 v19, s3, v16, v21
	s_wait_alu 0xf1ff
	v_add_co_ci_u32_e64 v20, null, v17, v22, s3
	global_load_b64 v[39:40], v[19:20], off
	ds_load_b128 v[19:22], v13
	ds_load_b128 v[23:26], v13 offset:16
	s_wait_dscnt 0x1
	v_fmac_f32_e32 v10, v20, v5
	v_fmac_f32_e32 v18, v19, v5
	s_delay_alu instid0(VALU_DEP_2) | instskip(NEXT) | instid1(VALU_DEP_2)
	v_fmac_f32_e32 v10, v19, v6
	v_fma_f32 v5, -v20, v6, v18
	s_wait_loadcnt 0x6
	v_cndmask_b32_e64 v6, v30, -v30, s16
	s_delay_alu instid0(VALU_DEP_3) | instskip(NEXT) | instid1(VALU_DEP_1)
	v_fmac_f32_e32 v10, v22, v29
	v_fmac_f32_e32 v10, v21, v6
	s_wait_loadcnt_dscnt 0x500
	s_delay_alu instid0(VALU_DEP_1) | instskip(SKIP_3) | instid1(VALU_DEP_1)
	v_dual_fmac_f32 v10, v24, v27 :: v_dual_fmac_f32 v5, v21, v29
	ds_load_b128 v[18:21], v13 offset:32
	v_fma_f32 v5, -v22, v6, v5
	v_cndmask_b32_e64 v6, v28, -v28, s16
	v_fmac_f32_e32 v10, v23, v6
	s_wait_loadcnt 0x4
	s_delay_alu instid0(VALU_DEP_1) | instskip(NEXT) | instid1(VALU_DEP_1)
	v_dual_fmac_f32 v5, v23, v27 :: v_dual_fmac_f32 v10, v26, v33
	v_fma_f32 v5, -v24, v6, v5
	v_cndmask_b32_e64 v6, v34, -v34, s16
	s_delay_alu instid0(VALU_DEP_1) | instskip(NEXT) | instid1(VALU_DEP_3)
	v_fmac_f32_e32 v10, v25, v6
	v_fmac_f32_e32 v5, v25, v33
	ds_load_b128 v[22:25], v13 offset:48
	s_wait_loadcnt_dscnt 0x301
	v_fmac_f32_e32 v10, v19, v31
	v_fma_f32 v5, -v26, v6, v5
	v_cndmask_b32_e64 v6, v32, -v32, s16
	s_delay_alu instid0(VALU_DEP_2) | instskip(NEXT) | instid1(VALU_DEP_1)
	v_fmac_f32_e32 v5, v18, v31
	v_fma_f32 v5, -v19, v6, v5
	v_fmac_f32_e32 v10, v18, v6
	s_wait_loadcnt 0x2
	v_cndmask_b32_e64 v6, v36, -v36, s16
	s_delay_alu instid0(VALU_DEP_3) | instskip(NEXT) | instid1(VALU_DEP_1)
	v_fmac_f32_e32 v5, v20, v35
	v_fma_f32 v5, -v21, v6, v5
	s_wait_loadcnt_dscnt 0x100
	s_delay_alu instid0(VALU_DEP_1) | instskip(NEXT) | instid1(VALU_DEP_1)
	v_dual_fmac_f32 v10, v21, v35 :: v_dual_fmac_f32 v5, v22, v37
	v_fmac_f32_e32 v10, v20, v6
	v_cndmask_b32_e64 v6, v38, -v38, s16
	s_delay_alu instid0(VALU_DEP_1) | instskip(SKIP_1) | instid1(VALU_DEP_1)
	v_fma_f32 v5, -v23, v6, v5
	s_wait_loadcnt 0x0
	v_dual_fmac_f32 v10, v23, v37 :: v_dual_fmac_f32 v5, v24, v39
	s_delay_alu instid0(VALU_DEP_1) | instskip(SKIP_1) | instid1(VALU_DEP_2)
	v_fmac_f32_e32 v10, v22, v6
	v_cndmask_b32_e64 v6, v40, -v40, s16
	v_fmac_f32_e32 v10, v25, v39
	s_delay_alu instid0(VALU_DEP_2) | instskip(NEXT) | instid1(VALU_DEP_2)
	v_fma_f32 v18, -v25, v6, v5
	v_fmac_f32_e32 v10, v24, v6
	s_branch .LBB6_6
.LBB6_11:
	s_or_b32 exec_lo, exec_lo, s6
.LBB6_12:
	s_delay_alu instid0(SALU_CYCLE_1)
	s_or_b32 exec_lo, exec_lo, s21
	v_cmp_gt_i32_e32 vcc_lo, s22, v8
	s_and_b32 exec_lo, exec_lo, vcc_lo
	s_cbranch_execz .LBB6_23
; %bb.13:
	s_clause 0x1
	s_load_b64 s[10:11], s[0:1], 0x70
	s_load_b128 s[4:7], s[0:1], 0x60
	s_wait_dscnt 0x0
	v_cmp_neq_f32_e32 vcc_lo, 0, v1
	v_cmp_neq_f32_e64 s0, 0, v2
	v_mul_f32_e64 v5, v10, -v4
	v_mul_f32_e32 v6, v3, v10
	s_or_b32 s3, vcc_lo, s0
	s_delay_alu instid0(VALU_DEP_2) | instskip(NEXT) | instid1(VALU_DEP_2)
	v_fmac_f32_e32 v5, v3, v18
	v_fmac_f32_e32 v6, v4, v18
	s_wait_kmcnt 0x0
	s_cmp_lg_u32 s8, 1
	s_cselect_b32 s2, -1, 0
	s_mul_u64 s[0:1], s[10:11], s[24:25]
	s_wait_alu 0xfffe
	s_and_saveexec_b32 s8, s3
	s_wait_alu 0xfffe
	s_xor_b32 s3, exec_lo, s8
	s_cbranch_execz .LBB6_18
; %bb.14:
	s_and_b32 vcc_lo, exec_lo, s2
	s_mov_b32 s8, -1
	s_cbranch_vccz .LBB6_16
; %bb.15:
	v_mad_co_u64_u32 v[3:4], null, s6, v7, 0
	s_lshl_b64 s[8:9], s[0:1], 3
	v_mov_b32_e32 v0, v4
	s_delay_alu instid0(VALU_DEP_1) | instskip(SKIP_1) | instid1(VALU_DEP_2)
	v_mad_co_u64_u32 v[9:10], null, s7, v7, v[0:1]
	v_lshlrev_b32_e32 v0, 3, v8
	v_mov_b32_e32 v4, v9
	s_delay_alu instid0(VALU_DEP_1) | instskip(NEXT) | instid1(VALU_DEP_1)
	v_lshlrev_b64_e32 v[3:4], 3, v[3:4]
	v_add_co_u32 v3, vcc_lo, s4, v3
	s_delay_alu instid0(VALU_DEP_1) | instskip(NEXT) | instid1(VALU_DEP_2)
	v_add_co_ci_u32_e64 v4, null, s5, v4, vcc_lo
	v_add_co_u32 v0, vcc_lo, v3, v0
	s_wait_alu 0xfffd
	s_delay_alu instid0(VALU_DEP_2) | instskip(SKIP_1) | instid1(VALU_DEP_2)
	v_add_co_ci_u32_e64 v4, null, 0, v4, vcc_lo
	s_wait_alu 0xfffe
	v_add_co_u32 v3, vcc_lo, v0, s8
	s_wait_alu 0xfffd
	s_delay_alu instid0(VALU_DEP_2)
	v_add_co_ci_u32_e64 v4, null, s9, v4, vcc_lo
	s_mov_b32 s8, 0
	global_load_b64 v[9:10], v[3:4], off
	s_wait_loadcnt 0x0
	v_fma_f32 v0, v1, v9, v5
	v_fma_f32 v12, v2, v9, v6
	s_delay_alu instid0(VALU_DEP_2) | instskip(NEXT) | instid1(VALU_DEP_2)
	v_fma_f32 v11, -v2, v10, v0
	v_fmac_f32_e32 v12, v1, v10
	global_store_b64 v[3:4], v[11:12], off
.LBB6_16:
	s_wait_alu 0xfffe
	s_and_not1_b32 vcc_lo, exec_lo, s8
	s_wait_alu 0xfffe
	s_cbranch_vccnz .LBB6_18
; %bb.17:
	v_mad_co_u64_u32 v[3:4], null, s6, v8, 0
	s_lshl_b64 s[8:9], s[0:1], 3
	v_mov_b32_e32 v0, v4
	s_delay_alu instid0(VALU_DEP_1) | instskip(SKIP_1) | instid1(VALU_DEP_2)
	v_mad_co_u64_u32 v[8:9], null, s7, v8, v[0:1]
	v_lshlrev_b32_e32 v0, 3, v7
	v_mov_b32_e32 v4, v8
	s_delay_alu instid0(VALU_DEP_1) | instskip(NEXT) | instid1(VALU_DEP_1)
	v_lshlrev_b64_e32 v[3:4], 3, v[3:4]
	v_add_co_u32 v3, vcc_lo, s4, v3
	s_wait_alu 0xfffd
	s_delay_alu instid0(VALU_DEP_2) | instskip(NEXT) | instid1(VALU_DEP_2)
	v_add_co_ci_u32_e64 v4, null, s5, v4, vcc_lo
	v_add_co_u32 v0, vcc_lo, v3, v0
	s_wait_alu 0xfffd
	s_delay_alu instid0(VALU_DEP_2) | instskip(SKIP_1) | instid1(VALU_DEP_2)
	v_add_co_ci_u32_e64 v4, null, 0, v4, vcc_lo
	s_wait_alu 0xfffe
	v_add_co_u32 v3, vcc_lo, v0, s8
	s_wait_alu 0xfffd
	s_delay_alu instid0(VALU_DEP_2) | instskip(SKIP_4) | instid1(VALU_DEP_2)
	v_add_co_ci_u32_e64 v4, null, s9, v4, vcc_lo
	global_load_b64 v[7:8], v[3:4], off
	s_wait_loadcnt 0x0
	v_fmac_f32_e32 v5, v1, v7
	v_fmac_f32_e32 v6, v2, v7
                                        ; implicit-def: $vgpr7
	v_fma_f32 v5, -v2, v8, v5
	s_delay_alu instid0(VALU_DEP_2)
	v_fmac_f32_e32 v6, v1, v8
                                        ; implicit-def: $vgpr8
	global_store_b64 v[3:4], v[5:6], off
                                        ; implicit-def: $vgpr5
.LBB6_18:
	s_wait_alu 0xfffe
	s_and_not1_saveexec_b32 s3, s3
	s_cbranch_execz .LBB6_23
; %bb.19:
	s_and_b32 vcc_lo, exec_lo, s2
	s_mov_b32 s2, -1
	s_wait_alu 0xfffe
	s_cbranch_vccz .LBB6_21
; %bb.20:
	v_mad_co_u64_u32 v[0:1], null, s6, v7, 0
	s_lshl_b64 s[2:3], s[0:1], 3
	v_mad_co_u64_u32 v[1:2], null, s7, v7, v[1:2]
	v_lshlrev_b32_e32 v2, 3, v8
	s_delay_alu instid0(VALU_DEP_2) | instskip(NEXT) | instid1(VALU_DEP_1)
	v_lshlrev_b64_e32 v[0:1], 3, v[0:1]
	v_add_co_u32 v0, vcc_lo, s4, v0
	s_wait_alu 0xfffd
	s_delay_alu instid0(VALU_DEP_2) | instskip(NEXT) | instid1(VALU_DEP_2)
	v_add_co_ci_u32_e64 v1, null, s5, v1, vcc_lo
	v_add_co_u32 v0, vcc_lo, v0, v2
	s_wait_alu 0xfffd
	s_delay_alu instid0(VALU_DEP_2) | instskip(SKIP_1) | instid1(VALU_DEP_2)
	v_add_co_ci_u32_e64 v1, null, 0, v1, vcc_lo
	s_wait_alu 0xfffe
	v_add_co_u32 v0, vcc_lo, v0, s2
	s_wait_alu 0xfffd
	s_delay_alu instid0(VALU_DEP_2)
	v_add_co_ci_u32_e64 v1, null, s3, v1, vcc_lo
	s_mov_b32 s2, 0
	global_store_b64 v[0:1], v[5:6], off
.LBB6_21:
	s_wait_alu 0xfffe
	s_and_not1_b32 vcc_lo, exec_lo, s2
	s_wait_alu 0xfffe
	s_cbranch_vccnz .LBB6_23
; %bb.22:
	v_mad_co_u64_u32 v[0:1], null, s6, v8, 0
	s_lshl_b64 s[0:1], s[0:1], 3
	v_mad_co_u64_u32 v[1:2], null, s7, v8, v[1:2]
	v_lshlrev_b32_e32 v2, 3, v7
	s_delay_alu instid0(VALU_DEP_2) | instskip(NEXT) | instid1(VALU_DEP_1)
	v_lshlrev_b64_e32 v[0:1], 3, v[0:1]
	v_add_co_u32 v0, vcc_lo, s4, v0
	s_wait_alu 0xfffd
	s_delay_alu instid0(VALU_DEP_2) | instskip(NEXT) | instid1(VALU_DEP_2)
	v_add_co_ci_u32_e64 v1, null, s5, v1, vcc_lo
	v_add_co_u32 v0, vcc_lo, v0, v2
	s_wait_alu 0xfffd
	s_delay_alu instid0(VALU_DEP_2) | instskip(SKIP_1) | instid1(VALU_DEP_2)
	v_add_co_ci_u32_e64 v1, null, 0, v1, vcc_lo
	s_wait_alu 0xfffe
	v_add_co_u32 v0, vcc_lo, v0, s0
	s_wait_alu 0xfffd
	s_delay_alu instid0(VALU_DEP_2)
	v_add_co_ci_u32_e64 v1, null, s1, v1, vcc_lo
	global_store_b64 v[0:1], v[5:6], off
.LBB6_23:
	s_endpgm
	.section	.rodata,"a",@progbits
	.p2align	6, 0x0
	.amdhsa_kernel _ZN9rocsparse31csrmmnn_row_split_shared_kernelILj256ELj8E21rocsparse_complex_numIfEiiS2_S2_S2_EEvNS_24const_host_device_scalarIT1_EES5_bbbT3_S6_llPKT2_PKS6_PKT4_PKT5_llPT6_ll16rocsparse_order_21rocsparse_index_base_
		.amdhsa_group_segment_fixed_size 3072
		.amdhsa_private_segment_fixed_size 0
		.amdhsa_kernarg_size 128
		.amdhsa_user_sgpr_count 2
		.amdhsa_user_sgpr_dispatch_ptr 0
		.amdhsa_user_sgpr_queue_ptr 0
		.amdhsa_user_sgpr_kernarg_segment_ptr 1
		.amdhsa_user_sgpr_dispatch_id 0
		.amdhsa_user_sgpr_private_segment_size 0
		.amdhsa_wavefront_size32 1
		.amdhsa_uses_dynamic_stack 0
		.amdhsa_enable_private_segment 0
		.amdhsa_system_sgpr_workgroup_id_x 1
		.amdhsa_system_sgpr_workgroup_id_y 1
		.amdhsa_system_sgpr_workgroup_id_z 1
		.amdhsa_system_sgpr_workgroup_info 0
		.amdhsa_system_vgpr_workitem_id 0
		.amdhsa_next_free_vgpr 41
		.amdhsa_next_free_sgpr 26
		.amdhsa_reserve_vcc 1
		.amdhsa_float_round_mode_32 0
		.amdhsa_float_round_mode_16_64 0
		.amdhsa_float_denorm_mode_32 3
		.amdhsa_float_denorm_mode_16_64 3
		.amdhsa_fp16_overflow 0
		.amdhsa_workgroup_processor_mode 1
		.amdhsa_memory_ordered 1
		.amdhsa_forward_progress 1
		.amdhsa_inst_pref_size 19
		.amdhsa_round_robin_scheduling 0
		.amdhsa_exception_fp_ieee_invalid_op 0
		.amdhsa_exception_fp_denorm_src 0
		.amdhsa_exception_fp_ieee_div_zero 0
		.amdhsa_exception_fp_ieee_overflow 0
		.amdhsa_exception_fp_ieee_underflow 0
		.amdhsa_exception_fp_ieee_inexact 0
		.amdhsa_exception_int_div_zero 0
	.end_amdhsa_kernel
	.section	.text._ZN9rocsparse31csrmmnn_row_split_shared_kernelILj256ELj8E21rocsparse_complex_numIfEiiS2_S2_S2_EEvNS_24const_host_device_scalarIT1_EES5_bbbT3_S6_llPKT2_PKS6_PKT4_PKT5_llPT6_ll16rocsparse_order_21rocsparse_index_base_,"axG",@progbits,_ZN9rocsparse31csrmmnn_row_split_shared_kernelILj256ELj8E21rocsparse_complex_numIfEiiS2_S2_S2_EEvNS_24const_host_device_scalarIT1_EES5_bbbT3_S6_llPKT2_PKS6_PKT4_PKT5_llPT6_ll16rocsparse_order_21rocsparse_index_base_,comdat
.Lfunc_end6:
	.size	_ZN9rocsparse31csrmmnn_row_split_shared_kernelILj256ELj8E21rocsparse_complex_numIfEiiS2_S2_S2_EEvNS_24const_host_device_scalarIT1_EES5_bbbT3_S6_llPKT2_PKS6_PKT4_PKT5_llPT6_ll16rocsparse_order_21rocsparse_index_base_, .Lfunc_end6-_ZN9rocsparse31csrmmnn_row_split_shared_kernelILj256ELj8E21rocsparse_complex_numIfEiiS2_S2_S2_EEvNS_24const_host_device_scalarIT1_EES5_bbbT3_S6_llPKT2_PKS6_PKT4_PKT5_llPT6_ll16rocsparse_order_21rocsparse_index_base_
                                        ; -- End function
	.set _ZN9rocsparse31csrmmnn_row_split_shared_kernelILj256ELj8E21rocsparse_complex_numIfEiiS2_S2_S2_EEvNS_24const_host_device_scalarIT1_EES5_bbbT3_S6_llPKT2_PKS6_PKT4_PKT5_llPT6_ll16rocsparse_order_21rocsparse_index_base_.num_vgpr, 41
	.set _ZN9rocsparse31csrmmnn_row_split_shared_kernelILj256ELj8E21rocsparse_complex_numIfEiiS2_S2_S2_EEvNS_24const_host_device_scalarIT1_EES5_bbbT3_S6_llPKT2_PKS6_PKT4_PKT5_llPT6_ll16rocsparse_order_21rocsparse_index_base_.num_agpr, 0
	.set _ZN9rocsparse31csrmmnn_row_split_shared_kernelILj256ELj8E21rocsparse_complex_numIfEiiS2_S2_S2_EEvNS_24const_host_device_scalarIT1_EES5_bbbT3_S6_llPKT2_PKS6_PKT4_PKT5_llPT6_ll16rocsparse_order_21rocsparse_index_base_.numbered_sgpr, 26
	.set _ZN9rocsparse31csrmmnn_row_split_shared_kernelILj256ELj8E21rocsparse_complex_numIfEiiS2_S2_S2_EEvNS_24const_host_device_scalarIT1_EES5_bbbT3_S6_llPKT2_PKS6_PKT4_PKT5_llPT6_ll16rocsparse_order_21rocsparse_index_base_.num_named_barrier, 0
	.set _ZN9rocsparse31csrmmnn_row_split_shared_kernelILj256ELj8E21rocsparse_complex_numIfEiiS2_S2_S2_EEvNS_24const_host_device_scalarIT1_EES5_bbbT3_S6_llPKT2_PKS6_PKT4_PKT5_llPT6_ll16rocsparse_order_21rocsparse_index_base_.private_seg_size, 0
	.set _ZN9rocsparse31csrmmnn_row_split_shared_kernelILj256ELj8E21rocsparse_complex_numIfEiiS2_S2_S2_EEvNS_24const_host_device_scalarIT1_EES5_bbbT3_S6_llPKT2_PKS6_PKT4_PKT5_llPT6_ll16rocsparse_order_21rocsparse_index_base_.uses_vcc, 1
	.set _ZN9rocsparse31csrmmnn_row_split_shared_kernelILj256ELj8E21rocsparse_complex_numIfEiiS2_S2_S2_EEvNS_24const_host_device_scalarIT1_EES5_bbbT3_S6_llPKT2_PKS6_PKT4_PKT5_llPT6_ll16rocsparse_order_21rocsparse_index_base_.uses_flat_scratch, 0
	.set _ZN9rocsparse31csrmmnn_row_split_shared_kernelILj256ELj8E21rocsparse_complex_numIfEiiS2_S2_S2_EEvNS_24const_host_device_scalarIT1_EES5_bbbT3_S6_llPKT2_PKS6_PKT4_PKT5_llPT6_ll16rocsparse_order_21rocsparse_index_base_.has_dyn_sized_stack, 0
	.set _ZN9rocsparse31csrmmnn_row_split_shared_kernelILj256ELj8E21rocsparse_complex_numIfEiiS2_S2_S2_EEvNS_24const_host_device_scalarIT1_EES5_bbbT3_S6_llPKT2_PKS6_PKT4_PKT5_llPT6_ll16rocsparse_order_21rocsparse_index_base_.has_recursion, 0
	.set _ZN9rocsparse31csrmmnn_row_split_shared_kernelILj256ELj8E21rocsparse_complex_numIfEiiS2_S2_S2_EEvNS_24const_host_device_scalarIT1_EES5_bbbT3_S6_llPKT2_PKS6_PKT4_PKT5_llPT6_ll16rocsparse_order_21rocsparse_index_base_.has_indirect_call, 0
	.section	.AMDGPU.csdata,"",@progbits
; Kernel info:
; codeLenInByte = 2344
; TotalNumSgprs: 28
; NumVgprs: 41
; ScratchSize: 0
; MemoryBound: 0
; FloatMode: 240
; IeeeMode: 1
; LDSByteSize: 3072 bytes/workgroup (compile time only)
; SGPRBlocks: 0
; VGPRBlocks: 5
; NumSGPRsForWavesPerEU: 28
; NumVGPRsForWavesPerEU: 41
; Occupancy: 16
; WaveLimiterHint : 1
; COMPUTE_PGM_RSRC2:SCRATCH_EN: 0
; COMPUTE_PGM_RSRC2:USER_SGPR: 2
; COMPUTE_PGM_RSRC2:TRAP_HANDLER: 0
; COMPUTE_PGM_RSRC2:TGID_X_EN: 1
; COMPUTE_PGM_RSRC2:TGID_Y_EN: 1
; COMPUTE_PGM_RSRC2:TGID_Z_EN: 1
; COMPUTE_PGM_RSRC2:TIDIG_COMP_CNT: 0
	.section	.text._ZN9rocsparse31csrmmnn_row_split_shared_kernelILj256ELj8E21rocsparse_complex_numIfEliS2_S2_S2_EEvNS_24const_host_device_scalarIT1_EES5_bbbT3_S6_llPKT2_PKS6_PKT4_PKT5_llPT6_ll16rocsparse_order_21rocsparse_index_base_,"axG",@progbits,_ZN9rocsparse31csrmmnn_row_split_shared_kernelILj256ELj8E21rocsparse_complex_numIfEliS2_S2_S2_EEvNS_24const_host_device_scalarIT1_EES5_bbbT3_S6_llPKT2_PKS6_PKT4_PKT5_llPT6_ll16rocsparse_order_21rocsparse_index_base_,comdat
	.protected	_ZN9rocsparse31csrmmnn_row_split_shared_kernelILj256ELj8E21rocsparse_complex_numIfEliS2_S2_S2_EEvNS_24const_host_device_scalarIT1_EES5_bbbT3_S6_llPKT2_PKS6_PKT4_PKT5_llPT6_ll16rocsparse_order_21rocsparse_index_base_ ; -- Begin function _ZN9rocsparse31csrmmnn_row_split_shared_kernelILj256ELj8E21rocsparse_complex_numIfEliS2_S2_S2_EEvNS_24const_host_device_scalarIT1_EES5_bbbT3_S6_llPKT2_PKS6_PKT4_PKT5_llPT6_ll16rocsparse_order_21rocsparse_index_base_
	.globl	_ZN9rocsparse31csrmmnn_row_split_shared_kernelILj256ELj8E21rocsparse_complex_numIfEliS2_S2_S2_EEvNS_24const_host_device_scalarIT1_EES5_bbbT3_S6_llPKT2_PKS6_PKT4_PKT5_llPT6_ll16rocsparse_order_21rocsparse_index_base_
	.p2align	8
	.type	_ZN9rocsparse31csrmmnn_row_split_shared_kernelILj256ELj8E21rocsparse_complex_numIfEliS2_S2_S2_EEvNS_24const_host_device_scalarIT1_EES5_bbbT3_S6_llPKT2_PKS6_PKT4_PKT5_llPT6_ll16rocsparse_order_21rocsparse_index_base_,@function
_ZN9rocsparse31csrmmnn_row_split_shared_kernelILj256ELj8E21rocsparse_complex_numIfEliS2_S2_S2_EEvNS_24const_host_device_scalarIT1_EES5_bbbT3_S6_llPKT2_PKS6_PKT4_PKT5_llPT6_ll16rocsparse_order_21rocsparse_index_base_: ; @_ZN9rocsparse31csrmmnn_row_split_shared_kernelILj256ELj8E21rocsparse_complex_numIfEliS2_S2_S2_EEvNS_24const_host_device_scalarIT1_EES5_bbbT3_S6_llPKT2_PKS6_PKT4_PKT5_llPT6_ll16rocsparse_order_21rocsparse_index_base_
; %bb.0:
	s_clause 0x1
	s_load_b32 s3, s[0:1], 0x10
	s_load_b128 s[4:7], s[0:1], 0x0
	s_or_b32 s2, s0, 8
	s_wait_kmcnt 0x0
	s_bitcmp1_b32 s3, 0
	s_cselect_b32 s4, s0, s4
	s_cselect_b32 s5, s1, s5
	s_delay_alu instid0(SALU_CYCLE_1)
	v_dual_mov_b32 v1, s4 :: v_dual_mov_b32 v2, s5
	s_cselect_b32 s2, s2, s6
	s_cselect_b32 s4, s1, s7
	flat_load_b64 v[7:8], v[1:2]
	s_wait_alu 0xfffe
	v_dual_mov_b32 v1, s2 :: v_dual_mov_b32 v2, s4
	flat_load_b64 v[5:6], v[1:2]
	s_wait_loadcnt_dscnt 0x101
	v_cmp_eq_f32_e32 vcc_lo, 0, v7
	v_cmp_eq_f32_e64 s2, 0, v8
	s_and_b32 s5, vcc_lo, s2
	s_mov_b32 s2, -1
	s_wait_alu 0xfffe
	s_and_saveexec_b32 s4, s5
	s_cbranch_execz .LBB7_2
; %bb.1:
	s_wait_loadcnt_dscnt 0x0
	v_cmp_neq_f32_e32 vcc_lo, 1.0, v5
	v_cmp_neq_f32_e64 s2, 0, v6
	s_or_b32 s2, vcc_lo, s2
	s_wait_alu 0xfffe
	s_or_not1_b32 s2, s2, exec_lo
.LBB7_2:
	s_wait_alu 0xfffe
	s_or_b32 exec_lo, exec_lo, s4
	s_and_saveexec_b32 s4, s2
	s_cbranch_execz .LBB7_23
; %bb.3:
	s_load_b96 s[20:22], s[0:1], 0x10
	v_lshl_or_b32 v1, ttmp9, 8, v0
	s_delay_alu instid0(VALU_DEP_1) | instskip(SKIP_1) | instid1(VALU_DEP_1)
	v_lshrrev_b32_e32 v17, 3, v1
	s_wait_kmcnt 0x0
	v_cmp_gt_i32_e32 vcc_lo, s21, v17
	s_and_b32 exec_lo, exec_lo, vcc_lo
	s_cbranch_execz .LBB7_23
; %bb.4:
	s_load_b512 s[4:19], s[0:1], 0x20
	s_mov_b32 s25, 0
	s_lshr_b32 s24, ttmp7, 16
	v_lshlrev_b32_e32 v15, 3, v17
	v_dual_mov_b32 v19, 0 :: v_dual_and_b32 v18, 7, v0
	s_and_b32 s2, ttmp7, 0xffff
	v_mov_b32_e32 v25, 0
	s_wait_alu 0xfffe
	s_delay_alu instid0(VALU_DEP_2)
	v_lshl_or_b32 v16, s2, 3, v18
	s_wait_kmcnt 0x0
	s_mul_u64 s[4:5], s[4:5], s[24:25]
	s_wait_alu 0xfffe
	s_lshl_b64 s[4:5], s[4:5], 3
	s_wait_alu 0xfffe
	s_add_nc_u64 s[4:5], s[8:9], s[4:5]
	s_load_b64 s[8:9], s[0:1], 0x78
	global_load_b128 v[1:4], v15, s[4:5]
	s_mov_b32 s5, exec_lo
	s_wait_loadcnt 0x0
	v_cmpx_lt_i64_e64 v[1:2], v[3:4]
	s_cbranch_execz .LBB7_12
; %bb.5:
	v_mad_co_u64_u32 v[9:10], null, s16, v16, 0
	v_lshrrev_b32_e32 v19, 3, v0
	v_mad_co_u64_u32 v[11:12], null, s6, s24, v[1:2]
	s_bitcmp1_b32 s3, 8
	s_wait_kmcnt 0x0
	v_sub_co_u32 v3, vcc_lo, v3, s9
	v_mov_b32_e32 v0, v10
	v_subrev_co_ci_u32_e64 v4, null, 0, v4, vcc_lo
	v_add_co_u32 v11, s3, v11, v18
	s_delay_alu instid0(VALU_DEP_3)
	v_mad_co_u64_u32 v[13:14], null, s17, v16, v[0:1]
	s_cselect_b32 vcc_lo, -1, 0
	s_bitcmp1_b32 s20, 16
	s_mul_u64 s[16:17], s[18:19], s[24:25]
	s_cselect_b32 s6, -1, 0
	v_sub_co_u32 v0, s2, v1, s9
	v_dual_mov_b32 v10, v13 :: v_dual_mov_b32 v25, 0
	v_mad_co_u64_u32 v[12:13], null, s7, s24, v[12:13]
	s_wait_alu 0xf1ff
	v_subrev_co_ci_u32_e64 v1, null, 0, v2, s2
	s_delay_alu instid0(VALU_DEP_3) | instskip(SKIP_4) | instid1(VALU_DEP_4)
	v_lshlrev_b64_e32 v[9:10], 3, v[9:10]
	v_lshl_or_b32 v2, v19, 5, 0x800
	v_dual_mov_b32 v19, 0 :: v_dual_lshlrev_b32 v20, 6, v19
	v_add_co_ci_u32_e64 v12, null, 0, v12, s3
	v_sub_co_u32 v11, s3, v11, s9
	v_lshl_or_b32 v21, v18, 2, v2
	s_wait_alu 0xf1ff
	s_delay_alu instid0(VALU_DEP_3) | instskip(SKIP_3) | instid1(VALU_DEP_3)
	v_subrev_co_ci_u32_e64 v12, null, 0, v12, s3
	v_add_co_u32 v13, s3, s14, v9
	s_wait_alu 0xf1ff
	v_add_co_ci_u32_e64 v14, null, s15, v10, s3
	v_lshlrev_b64_e32 v[9:10], 3, v[11:12]
	s_wait_alu 0xfffe
	s_lshl_b64 s[14:15], s[16:17], 3
	v_lshlrev_b64_e32 v[11:12], 2, v[11:12]
	s_wait_alu 0xfffe
	v_add_co_u32 v23, s3, v13, s14
	s_wait_alu 0xf1ff
	v_add_co_ci_u32_e64 v24, null, s15, v14, s3
	v_add_co_u32 v13, s3, s12, v9
	s_wait_alu 0xf1ff
	v_add_co_ci_u32_e64 v14, null, s13, v10, s3
	;; [unrolled: 3-line block ×3, first 2 shown]
	v_add_co_u32 v11, s3, v13, 4
	v_lshl_or_b32 v22, v18, 3, v20
	v_cmp_gt_i32_e64 s2, s22, v16
	s_wait_alu 0xf1ff
	v_add_co_ci_u32_e64 v12, null, 0, v14, s3
	s_mov_b32 s7, s25
	s_branch .LBB7_7
.LBB7_6:                                ;   in Loop: Header=BB7_7 Depth=1
	s_wait_alu 0xfffe
	s_or_b32 exec_lo, exec_lo, s4
	v_add_co_u32 v0, s3, v0, 8
	s_wait_alu 0xf1ff
	v_add_co_ci_u32_e64 v1, null, 0, v1, s3
	v_add_co_u32 v9, s3, v9, 32
	s_wait_alu 0xf1ff
	v_add_co_ci_u32_e64 v10, null, 0, v10, s3
	s_delay_alu instid0(VALU_DEP_3)
	v_cmp_ge_i64_e64 s3, v[0:1], v[3:4]
	v_add_co_u32 v11, s4, v11, 64
	s_wait_alu 0xf1ff
	v_add_co_ci_u32_e64 v12, null, 0, v12, s4
	s_or_b32 s7, s3, s7
	s_wait_alu 0xfffe
	s_and_not1_b32 exec_lo, exec_lo, s7
	s_cbranch_execz .LBB7_11
.LBB7_7:                                ; =>This Inner Loop Header: Depth=1
	v_add_co_u32 v13, s3, v18, v0
	s_wait_alu 0xf1ff
	v_add_co_ci_u32_e64 v14, null, 0, v1, s3
	v_mov_b32_e32 v26, 0
	s_wait_dscnt 0x0
	s_barrier_signal -1
	s_delay_alu instid0(VALU_DEP_2)
	v_cmp_lt_i64_e64 s3, v[13:14], v[3:4]
	v_dual_mov_b32 v13, 0 :: v_dual_mov_b32 v14, 0
	s_barrier_wait -1
	global_inv scope:SCOPE_SE
	s_and_saveexec_b32 s4, s3
	s_cbranch_execz .LBB7_9
; %bb.8:                                ;   in Loop: Header=BB7_7 Depth=1
	global_load_b64 v[13:14], v[11:12], off offset:-4
	global_load_b32 v26, v[9:10], off
	s_wait_loadcnt 0x1
	v_xor_b32_e32 v27, 0x80000000, v14
	s_wait_loadcnt 0x0
	v_subrev_nc_u32_e32 v26, s9, v26
	s_delay_alu instid0(VALU_DEP_2)
	v_cndmask_b32_e32 v14, v14, v27, vcc_lo
.LBB7_9:                                ;   in Loop: Header=BB7_7 Depth=1
	s_wait_alu 0xfffe
	s_or_b32 exec_lo, exec_lo, s4
	ds_store_b32 v21, v26
	ds_store_b64 v22, v[13:14]
	s_wait_loadcnt_dscnt 0x0
	s_barrier_signal -1
	s_barrier_wait -1
	global_inv scope:SCOPE_SE
	s_and_saveexec_b32 s4, s2
	s_cbranch_execz .LBB7_6
; %bb.10:                               ;   in Loop: Header=BB7_7 Depth=1
	ds_load_b128 v[26:29], v2
	ds_load_b128 v[30:33], v2 offset:16
	s_wait_dscnt 0x1
	v_ashrrev_i32_e32 v14, 31, v26
	v_dual_mov_b32 v13, v26 :: v_dual_mov_b32 v34, v27
	v_ashrrev_i32_e32 v35, 31, v27
	s_wait_dscnt 0x0
	v_ashrrev_i32_e32 v39, 31, v31
	s_delay_alu instid0(VALU_DEP_3) | instskip(NEXT) | instid1(VALU_DEP_3)
	v_lshlrev_b64_e32 v[13:14], 3, v[13:14]
	v_lshlrev_b64_e32 v[26:27], 3, v[34:35]
	v_ashrrev_i32_e32 v35, 31, v28
	v_mov_b32_e32 v34, v28
	v_ashrrev_i32_e32 v28, 31, v29
	v_add_co_u32 v13, s3, v23, v13
	s_wait_alu 0xf1ff
	v_add_co_ci_u32_e64 v14, null, v24, v14, s3
	v_lshlrev_b64_e32 v[34:35], 3, v[34:35]
	v_add_co_u32 v26, s3, v23, v26
	global_load_b64 v[13:14], v[13:14], off
	s_wait_alu 0xf1ff
	v_add_co_ci_u32_e64 v27, null, v24, v27, s3
	v_add_co_u32 v34, s3, v23, v34
	s_wait_alu 0xf1ff
	v_add_co_ci_u32_e64 v35, null, v24, v35, s3
	s_clause 0x1
	global_load_b64 v[36:37], v[26:27], off
	global_load_b64 v[34:35], v[34:35], off
	v_mov_b32_e32 v27, v29
	v_ashrrev_i32_e32 v29, 31, v30
	v_mov_b32_e32 v38, v31
	v_ashrrev_i32_e32 v31, 31, v32
	s_delay_alu instid0(VALU_DEP_4) | instskip(SKIP_1) | instid1(VALU_DEP_2)
	v_lshlrev_b64_e32 v[26:27], 3, v[27:28]
	v_mov_b32_e32 v28, v30
	v_add_co_u32 v26, s3, v23, v26
	s_wait_alu 0xf1ff
	s_delay_alu instid0(VALU_DEP_3) | instskip(NEXT) | instid1(VALU_DEP_3)
	v_add_co_ci_u32_e64 v27, null, v24, v27, s3
	v_lshlrev_b64_e32 v[28:29], 3, v[28:29]
	global_load_b64 v[40:41], v[26:27], off
	v_add_co_u32 v26, s3, v23, v28
	s_wait_alu 0xf1ff
	v_add_co_ci_u32_e64 v27, null, v24, v29, s3
	v_lshlrev_b64_e32 v[28:29], 3, v[38:39]
	global_load_b64 v[38:39], v[26:27], off
	v_add_co_u32 v26, s3, v23, v28
	s_wait_alu 0xf1ff
	v_add_co_ci_u32_e64 v27, null, v24, v29, s3
	global_load_b64 v[42:43], v[26:27], off
	s_wait_loadcnt 0x5
	v_cndmask_b32_e64 v14, v14, -v14, s6
	v_mov_b32_e32 v30, v32
	s_delay_alu instid0(VALU_DEP_1) | instskip(SKIP_2) | instid1(VALU_DEP_3)
	v_lshlrev_b64_e32 v[28:29], 3, v[30:31]
	v_ashrrev_i32_e32 v31, 31, v33
	v_mov_b32_e32 v30, v33
	v_add_co_u32 v26, s3, v23, v28
	s_wait_alu 0xf1ff
	s_delay_alu instid0(VALU_DEP_4) | instskip(NEXT) | instid1(VALU_DEP_3)
	v_add_co_ci_u32_e64 v27, null, v24, v29, s3
	v_lshlrev_b64_e32 v[28:29], 3, v[30:31]
	global_load_b64 v[44:45], v[26:27], off
	v_add_co_u32 v26, s3, v23, v28
	s_wait_alu 0xf1ff
	v_add_co_ci_u32_e64 v27, null, v24, v29, s3
	global_load_b64 v[46:47], v[26:27], off
	ds_load_b128 v[26:29], v20
	ds_load_b128 v[30:33], v20 offset:16
	s_wait_dscnt 0x1
	v_fmac_f32_e32 v25, v26, v13
	v_fmac_f32_e32 v19, v27, v13
	s_delay_alu instid0(VALU_DEP_2) | instskip(NEXT) | instid1(VALU_DEP_2)
	v_fma_f32 v13, -v27, v14, v25
	v_fmac_f32_e32 v19, v26, v14
	s_wait_loadcnt 0x6
	v_cndmask_b32_e64 v14, v37, -v37, s6
	s_delay_alu instid0(VALU_DEP_3) | instskip(NEXT) | instid1(VALU_DEP_3)
	v_fmac_f32_e32 v13, v28, v36
	v_fmac_f32_e32 v19, v29, v36
	s_delay_alu instid0(VALU_DEP_2) | instskip(NEXT) | instid1(VALU_DEP_2)
	v_fma_f32 v13, -v29, v14, v13
	v_fmac_f32_e32 v19, v28, v14
	ds_load_b128 v[25:28], v20 offset:32
	s_wait_loadcnt 0x5
	v_cndmask_b32_e64 v14, v35, -v35, s6
	s_wait_dscnt 0x1
	v_fmac_f32_e32 v13, v30, v34
	v_fmac_f32_e32 v19, v31, v34
	s_delay_alu instid0(VALU_DEP_2) | instskip(NEXT) | instid1(VALU_DEP_2)
	v_fma_f32 v13, -v31, v14, v13
	v_fmac_f32_e32 v19, v30, v14
	s_wait_loadcnt 0x4
	v_cndmask_b32_e64 v14, v41, -v41, s6
	s_delay_alu instid0(VALU_DEP_3) | instskip(NEXT) | instid1(VALU_DEP_3)
	v_fmac_f32_e32 v13, v32, v40
	v_fmac_f32_e32 v19, v33, v40
	s_delay_alu instid0(VALU_DEP_2) | instskip(NEXT) | instid1(VALU_DEP_2)
	v_fma_f32 v13, -v33, v14, v13
	v_fmac_f32_e32 v19, v32, v14
	ds_load_b128 v[29:32], v20 offset:48
	s_wait_loadcnt 0x3
	v_cndmask_b32_e64 v14, v39, -v39, s6
	s_wait_dscnt 0x1
	v_fmac_f32_e32 v13, v25, v38
	v_fmac_f32_e32 v19, v26, v38
	s_delay_alu instid0(VALU_DEP_2) | instskip(NEXT) | instid1(VALU_DEP_2)
	v_fma_f32 v13, -v26, v14, v13
	v_fmac_f32_e32 v19, v25, v14
	s_wait_loadcnt 0x2
	v_cndmask_b32_e64 v14, v43, -v43, s6
	s_delay_alu instid0(VALU_DEP_3) | instskip(NEXT) | instid1(VALU_DEP_3)
	v_fmac_f32_e32 v13, v27, v42
	v_fmac_f32_e32 v19, v28, v42
	s_delay_alu instid0(VALU_DEP_2) | instskip(NEXT) | instid1(VALU_DEP_2)
	v_fma_f32 v13, -v28, v14, v13
	v_fmac_f32_e32 v19, v27, v14
	s_wait_loadcnt 0x1
	v_cndmask_b32_e64 v14, v45, -v45, s6
	s_wait_dscnt 0x0
	v_fmac_f32_e32 v13, v29, v44
	v_fmac_f32_e32 v19, v30, v44
	s_delay_alu instid0(VALU_DEP_2) | instskip(NEXT) | instid1(VALU_DEP_2)
	v_fma_f32 v13, -v30, v14, v13
	v_fmac_f32_e32 v19, v29, v14
	s_wait_loadcnt 0x0
	v_cndmask_b32_e64 v14, v47, -v47, s6
	s_delay_alu instid0(VALU_DEP_3) | instskip(NEXT) | instid1(VALU_DEP_3)
	v_fmac_f32_e32 v13, v31, v46
	v_fmac_f32_e32 v19, v32, v46
	s_delay_alu instid0(VALU_DEP_2) | instskip(NEXT) | instid1(VALU_DEP_2)
	v_fma_f32 v25, -v32, v14, v13
	v_fmac_f32_e32 v19, v31, v14
	s_branch .LBB7_6
.LBB7_11:
	s_or_b32 exec_lo, exec_lo, s7
.LBB7_12:
	s_wait_alu 0xfffe
	s_or_b32 exec_lo, exec_lo, s5
	v_cmp_gt_i32_e32 vcc_lo, s22, v16
	s_and_b32 exec_lo, exec_lo, vcc_lo
	s_cbranch_execz .LBB7_23
; %bb.13:
	s_clause 0x1
	s_load_b64 s[10:11], s[0:1], 0x70
	s_load_b128 s[4:7], s[0:1], 0x60
	s_wait_dscnt 0x0
	v_cmp_neq_f32_e32 vcc_lo, 0, v5
	v_cmp_neq_f32_e64 s0, 0, v6
	v_mul_f32_e64 v0, v19, -v8
	v_mul_f32_e32 v1, v7, v19
	s_or_b32 s3, vcc_lo, s0
	s_delay_alu instid0(VALU_DEP_2) | instskip(NEXT) | instid1(VALU_DEP_2)
	v_fmac_f32_e32 v0, v7, v25
	v_fmac_f32_e32 v1, v8, v25
	s_wait_kmcnt 0x0
	s_cmp_lg_u32 s8, 1
	s_cselect_b32 s2, -1, 0
	s_mul_u64 s[0:1], s[10:11], s[24:25]
	s_wait_alu 0xfffe
	s_and_saveexec_b32 s8, s3
	s_wait_alu 0xfffe
	s_xor_b32 s3, exec_lo, s8
	s_cbranch_execz .LBB7_18
; %bb.14:
	s_and_b32 vcc_lo, exec_lo, s2
	s_mov_b32 s8, -1
	s_wait_alu 0xfffe
	s_cbranch_vccz .LBB7_16
; %bb.15:
	v_mad_co_u64_u32 v[2:3], null, s6, v17, 0
	s_lshl_b64 s[8:9], s[0:1], 3
	v_mad_co_u64_u32 v[3:4], null, s7, v17, v[3:4]
	v_lshlrev_b32_e32 v4, 3, v16
	s_delay_alu instid0(VALU_DEP_2) | instskip(NEXT) | instid1(VALU_DEP_1)
	v_lshlrev_b64_e32 v[2:3], 3, v[2:3]
	v_add_co_u32 v2, vcc_lo, s4, v2
	s_wait_alu 0xfffd
	s_delay_alu instid0(VALU_DEP_2) | instskip(NEXT) | instid1(VALU_DEP_2)
	v_add_co_ci_u32_e64 v3, null, s5, v3, vcc_lo
	v_add_co_u32 v2, vcc_lo, v2, v4
	s_wait_alu 0xfffd
	s_delay_alu instid0(VALU_DEP_2) | instskip(SKIP_1) | instid1(VALU_DEP_2)
	v_add_co_ci_u32_e64 v3, null, 0, v3, vcc_lo
	s_wait_alu 0xfffe
	v_add_co_u32 v2, vcc_lo, v2, s8
	s_wait_alu 0xfffd
	s_delay_alu instid0(VALU_DEP_2)
	v_add_co_ci_u32_e64 v3, null, s9, v3, vcc_lo
	s_mov_b32 s8, 0
	global_load_b64 v[7:8], v[2:3], off
	s_wait_loadcnt 0x0
	v_fma_f32 v4, v5, v7, v0
	v_fma_f32 v10, v6, v7, v1
	s_delay_alu instid0(VALU_DEP_2) | instskip(NEXT) | instid1(VALU_DEP_2)
	v_fma_f32 v9, -v6, v8, v4
	v_fmac_f32_e32 v10, v5, v8
	global_store_b64 v[2:3], v[9:10], off
.LBB7_16:
	s_wait_alu 0xfffe
	s_and_not1_b32 vcc_lo, exec_lo, s8
                                        ; implicit-def: $vgpr17
	s_wait_alu 0xfffe
	s_cbranch_vccnz .LBB7_18
; %bb.17:
	v_mad_co_u64_u32 v[2:3], null, s6, v16, 0
	s_lshl_b64 s[8:9], s[0:1], 3
                                        ; implicit-def: $vgpr17
	v_mad_co_u64_u32 v[3:4], null, s7, v16, v[3:4]
                                        ; implicit-def: $vgpr16
	s_delay_alu instid0(VALU_DEP_1) | instskip(NEXT) | instid1(VALU_DEP_1)
	v_lshlrev_b64_e32 v[2:3], 3, v[2:3]
	v_add_co_u32 v2, vcc_lo, s4, v2
	s_wait_alu 0xfffd
	s_delay_alu instid0(VALU_DEP_2) | instskip(NEXT) | instid1(VALU_DEP_2)
	v_add_co_ci_u32_e64 v3, null, s5, v3, vcc_lo
	v_add_co_u32 v2, vcc_lo, v2, v15
	s_wait_alu 0xfffd
	s_delay_alu instid0(VALU_DEP_2) | instskip(SKIP_1) | instid1(VALU_DEP_2)
	v_add_co_ci_u32_e64 v3, null, 0, v3, vcc_lo
                                        ; implicit-def: $vgpr15
	s_wait_alu 0xfffe
	v_add_co_u32 v2, vcc_lo, v2, s8
	s_wait_alu 0xfffd
	s_delay_alu instid0(VALU_DEP_2) | instskip(SKIP_4) | instid1(VALU_DEP_2)
	v_add_co_ci_u32_e64 v3, null, s9, v3, vcc_lo
	global_load_b64 v[7:8], v[2:3], off
	s_wait_loadcnt 0x0
	v_fmac_f32_e32 v0, v5, v7
	v_fmac_f32_e32 v1, v6, v7
	v_fma_f32 v0, -v6, v8, v0
	s_delay_alu instid0(VALU_DEP_2)
	v_fmac_f32_e32 v1, v5, v8
	global_store_b64 v[2:3], v[0:1], off
                                        ; implicit-def: $vgpr0
.LBB7_18:
	s_wait_alu 0xfffe
	s_and_not1_saveexec_b32 s3, s3
	s_cbranch_execz .LBB7_23
; %bb.19:
	s_and_b32 vcc_lo, exec_lo, s2
	s_mov_b32 s2, -1
	s_wait_alu 0xfffe
	s_cbranch_vccz .LBB7_21
; %bb.20:
	v_mad_co_u64_u32 v[2:3], null, s6, v17, 0
	s_lshl_b64 s[2:3], s[0:1], 3
	v_mad_co_u64_u32 v[3:4], null, s7, v17, v[3:4]
	v_lshlrev_b32_e32 v4, 3, v16
	s_delay_alu instid0(VALU_DEP_2) | instskip(NEXT) | instid1(VALU_DEP_1)
	v_lshlrev_b64_e32 v[2:3], 3, v[2:3]
	v_add_co_u32 v2, vcc_lo, s4, v2
	s_wait_alu 0xfffd
	s_delay_alu instid0(VALU_DEP_2) | instskip(NEXT) | instid1(VALU_DEP_2)
	v_add_co_ci_u32_e64 v3, null, s5, v3, vcc_lo
	v_add_co_u32 v2, vcc_lo, v2, v4
	s_wait_alu 0xfffd
	s_delay_alu instid0(VALU_DEP_2) | instskip(SKIP_1) | instid1(VALU_DEP_2)
	v_add_co_ci_u32_e64 v3, null, 0, v3, vcc_lo
	s_wait_alu 0xfffe
	v_add_co_u32 v2, vcc_lo, v2, s2
	s_wait_alu 0xfffd
	s_delay_alu instid0(VALU_DEP_2)
	v_add_co_ci_u32_e64 v3, null, s3, v3, vcc_lo
	s_mov_b32 s2, 0
	global_store_b64 v[2:3], v[0:1], off
.LBB7_21:
	s_wait_alu 0xfffe
	s_and_not1_b32 vcc_lo, exec_lo, s2
	s_wait_alu 0xfffe
	s_cbranch_vccnz .LBB7_23
; %bb.22:
	v_mad_co_u64_u32 v[2:3], null, s6, v16, 0
	s_lshl_b64 s[0:1], s[0:1], 3
	v_mad_co_u64_u32 v[3:4], null, s7, v16, v[3:4]
	s_delay_alu instid0(VALU_DEP_1) | instskip(NEXT) | instid1(VALU_DEP_1)
	v_lshlrev_b64_e32 v[2:3], 3, v[2:3]
	v_add_co_u32 v2, vcc_lo, s4, v2
	s_wait_alu 0xfffd
	s_delay_alu instid0(VALU_DEP_2) | instskip(NEXT) | instid1(VALU_DEP_2)
	v_add_co_ci_u32_e64 v3, null, s5, v3, vcc_lo
	v_add_co_u32 v2, vcc_lo, v2, v15
	s_wait_alu 0xfffd
	s_delay_alu instid0(VALU_DEP_2) | instskip(SKIP_1) | instid1(VALU_DEP_2)
	v_add_co_ci_u32_e64 v3, null, 0, v3, vcc_lo
	s_wait_alu 0xfffe
	v_add_co_u32 v2, vcc_lo, v2, s0
	s_wait_alu 0xfffd
	s_delay_alu instid0(VALU_DEP_2)
	v_add_co_ci_u32_e64 v3, null, s1, v3, vcc_lo
	global_store_b64 v[2:3], v[0:1], off
.LBB7_23:
	s_endpgm
	.section	.rodata,"a",@progbits
	.p2align	6, 0x0
	.amdhsa_kernel _ZN9rocsparse31csrmmnn_row_split_shared_kernelILj256ELj8E21rocsparse_complex_numIfEliS2_S2_S2_EEvNS_24const_host_device_scalarIT1_EES5_bbbT3_S6_llPKT2_PKS6_PKT4_PKT5_llPT6_ll16rocsparse_order_21rocsparse_index_base_
		.amdhsa_group_segment_fixed_size 3072
		.amdhsa_private_segment_fixed_size 0
		.amdhsa_kernarg_size 128
		.amdhsa_user_sgpr_count 2
		.amdhsa_user_sgpr_dispatch_ptr 0
		.amdhsa_user_sgpr_queue_ptr 0
		.amdhsa_user_sgpr_kernarg_segment_ptr 1
		.amdhsa_user_sgpr_dispatch_id 0
		.amdhsa_user_sgpr_private_segment_size 0
		.amdhsa_wavefront_size32 1
		.amdhsa_uses_dynamic_stack 0
		.amdhsa_enable_private_segment 0
		.amdhsa_system_sgpr_workgroup_id_x 1
		.amdhsa_system_sgpr_workgroup_id_y 1
		.amdhsa_system_sgpr_workgroup_id_z 1
		.amdhsa_system_sgpr_workgroup_info 0
		.amdhsa_system_vgpr_workitem_id 0
		.amdhsa_next_free_vgpr 48
		.amdhsa_next_free_sgpr 26
		.amdhsa_reserve_vcc 1
		.amdhsa_float_round_mode_32 0
		.amdhsa_float_round_mode_16_64 0
		.amdhsa_float_denorm_mode_32 3
		.amdhsa_float_denorm_mode_16_64 3
		.amdhsa_fp16_overflow 0
		.amdhsa_workgroup_processor_mode 1
		.amdhsa_memory_ordered 1
		.amdhsa_forward_progress 1
		.amdhsa_inst_pref_size 20
		.amdhsa_round_robin_scheduling 0
		.amdhsa_exception_fp_ieee_invalid_op 0
		.amdhsa_exception_fp_denorm_src 0
		.amdhsa_exception_fp_ieee_div_zero 0
		.amdhsa_exception_fp_ieee_overflow 0
		.amdhsa_exception_fp_ieee_underflow 0
		.amdhsa_exception_fp_ieee_inexact 0
		.amdhsa_exception_int_div_zero 0
	.end_amdhsa_kernel
	.section	.text._ZN9rocsparse31csrmmnn_row_split_shared_kernelILj256ELj8E21rocsparse_complex_numIfEliS2_S2_S2_EEvNS_24const_host_device_scalarIT1_EES5_bbbT3_S6_llPKT2_PKS6_PKT4_PKT5_llPT6_ll16rocsparse_order_21rocsparse_index_base_,"axG",@progbits,_ZN9rocsparse31csrmmnn_row_split_shared_kernelILj256ELj8E21rocsparse_complex_numIfEliS2_S2_S2_EEvNS_24const_host_device_scalarIT1_EES5_bbbT3_S6_llPKT2_PKS6_PKT4_PKT5_llPT6_ll16rocsparse_order_21rocsparse_index_base_,comdat
.Lfunc_end7:
	.size	_ZN9rocsparse31csrmmnn_row_split_shared_kernelILj256ELj8E21rocsparse_complex_numIfEliS2_S2_S2_EEvNS_24const_host_device_scalarIT1_EES5_bbbT3_S6_llPKT2_PKS6_PKT4_PKT5_llPT6_ll16rocsparse_order_21rocsparse_index_base_, .Lfunc_end7-_ZN9rocsparse31csrmmnn_row_split_shared_kernelILj256ELj8E21rocsparse_complex_numIfEliS2_S2_S2_EEvNS_24const_host_device_scalarIT1_EES5_bbbT3_S6_llPKT2_PKS6_PKT4_PKT5_llPT6_ll16rocsparse_order_21rocsparse_index_base_
                                        ; -- End function
	.set _ZN9rocsparse31csrmmnn_row_split_shared_kernelILj256ELj8E21rocsparse_complex_numIfEliS2_S2_S2_EEvNS_24const_host_device_scalarIT1_EES5_bbbT3_S6_llPKT2_PKS6_PKT4_PKT5_llPT6_ll16rocsparse_order_21rocsparse_index_base_.num_vgpr, 48
	.set _ZN9rocsparse31csrmmnn_row_split_shared_kernelILj256ELj8E21rocsparse_complex_numIfEliS2_S2_S2_EEvNS_24const_host_device_scalarIT1_EES5_bbbT3_S6_llPKT2_PKS6_PKT4_PKT5_llPT6_ll16rocsparse_order_21rocsparse_index_base_.num_agpr, 0
	.set _ZN9rocsparse31csrmmnn_row_split_shared_kernelILj256ELj8E21rocsparse_complex_numIfEliS2_S2_S2_EEvNS_24const_host_device_scalarIT1_EES5_bbbT3_S6_llPKT2_PKS6_PKT4_PKT5_llPT6_ll16rocsparse_order_21rocsparse_index_base_.numbered_sgpr, 26
	.set _ZN9rocsparse31csrmmnn_row_split_shared_kernelILj256ELj8E21rocsparse_complex_numIfEliS2_S2_S2_EEvNS_24const_host_device_scalarIT1_EES5_bbbT3_S6_llPKT2_PKS6_PKT4_PKT5_llPT6_ll16rocsparse_order_21rocsparse_index_base_.num_named_barrier, 0
	.set _ZN9rocsparse31csrmmnn_row_split_shared_kernelILj256ELj8E21rocsparse_complex_numIfEliS2_S2_S2_EEvNS_24const_host_device_scalarIT1_EES5_bbbT3_S6_llPKT2_PKS6_PKT4_PKT5_llPT6_ll16rocsparse_order_21rocsparse_index_base_.private_seg_size, 0
	.set _ZN9rocsparse31csrmmnn_row_split_shared_kernelILj256ELj8E21rocsparse_complex_numIfEliS2_S2_S2_EEvNS_24const_host_device_scalarIT1_EES5_bbbT3_S6_llPKT2_PKS6_PKT4_PKT5_llPT6_ll16rocsparse_order_21rocsparse_index_base_.uses_vcc, 1
	.set _ZN9rocsparse31csrmmnn_row_split_shared_kernelILj256ELj8E21rocsparse_complex_numIfEliS2_S2_S2_EEvNS_24const_host_device_scalarIT1_EES5_bbbT3_S6_llPKT2_PKS6_PKT4_PKT5_llPT6_ll16rocsparse_order_21rocsparse_index_base_.uses_flat_scratch, 0
	.set _ZN9rocsparse31csrmmnn_row_split_shared_kernelILj256ELj8E21rocsparse_complex_numIfEliS2_S2_S2_EEvNS_24const_host_device_scalarIT1_EES5_bbbT3_S6_llPKT2_PKS6_PKT4_PKT5_llPT6_ll16rocsparse_order_21rocsparse_index_base_.has_dyn_sized_stack, 0
	.set _ZN9rocsparse31csrmmnn_row_split_shared_kernelILj256ELj8E21rocsparse_complex_numIfEliS2_S2_S2_EEvNS_24const_host_device_scalarIT1_EES5_bbbT3_S6_llPKT2_PKS6_PKT4_PKT5_llPT6_ll16rocsparse_order_21rocsparse_index_base_.has_recursion, 0
	.set _ZN9rocsparse31csrmmnn_row_split_shared_kernelILj256ELj8E21rocsparse_complex_numIfEliS2_S2_S2_EEvNS_24const_host_device_scalarIT1_EES5_bbbT3_S6_llPKT2_PKS6_PKT4_PKT5_llPT6_ll16rocsparse_order_21rocsparse_index_base_.has_indirect_call, 0
	.section	.AMDGPU.csdata,"",@progbits
; Kernel info:
; codeLenInByte = 2476
; TotalNumSgprs: 28
; NumVgprs: 48
; ScratchSize: 0
; MemoryBound: 0
; FloatMode: 240
; IeeeMode: 1
; LDSByteSize: 3072 bytes/workgroup (compile time only)
; SGPRBlocks: 0
; VGPRBlocks: 5
; NumSGPRsForWavesPerEU: 28
; NumVGPRsForWavesPerEU: 48
; Occupancy: 16
; WaveLimiterHint : 1
; COMPUTE_PGM_RSRC2:SCRATCH_EN: 0
; COMPUTE_PGM_RSRC2:USER_SGPR: 2
; COMPUTE_PGM_RSRC2:TRAP_HANDLER: 0
; COMPUTE_PGM_RSRC2:TGID_X_EN: 1
; COMPUTE_PGM_RSRC2:TGID_Y_EN: 1
; COMPUTE_PGM_RSRC2:TGID_Z_EN: 1
; COMPUTE_PGM_RSRC2:TIDIG_COMP_CNT: 0
	.section	.text._ZN9rocsparse31csrmmnn_row_split_shared_kernelILj256ELj8E21rocsparse_complex_numIfEllS2_S2_S2_EEvNS_24const_host_device_scalarIT1_EES5_bbbT3_S6_llPKT2_PKS6_PKT4_PKT5_llPT6_ll16rocsparse_order_21rocsparse_index_base_,"axG",@progbits,_ZN9rocsparse31csrmmnn_row_split_shared_kernelILj256ELj8E21rocsparse_complex_numIfEllS2_S2_S2_EEvNS_24const_host_device_scalarIT1_EES5_bbbT3_S6_llPKT2_PKS6_PKT4_PKT5_llPT6_ll16rocsparse_order_21rocsparse_index_base_,comdat
	.protected	_ZN9rocsparse31csrmmnn_row_split_shared_kernelILj256ELj8E21rocsparse_complex_numIfEllS2_S2_S2_EEvNS_24const_host_device_scalarIT1_EES5_bbbT3_S6_llPKT2_PKS6_PKT4_PKT5_llPT6_ll16rocsparse_order_21rocsparse_index_base_ ; -- Begin function _ZN9rocsparse31csrmmnn_row_split_shared_kernelILj256ELj8E21rocsparse_complex_numIfEllS2_S2_S2_EEvNS_24const_host_device_scalarIT1_EES5_bbbT3_S6_llPKT2_PKS6_PKT4_PKT5_llPT6_ll16rocsparse_order_21rocsparse_index_base_
	.globl	_ZN9rocsparse31csrmmnn_row_split_shared_kernelILj256ELj8E21rocsparse_complex_numIfEllS2_S2_S2_EEvNS_24const_host_device_scalarIT1_EES5_bbbT3_S6_llPKT2_PKS6_PKT4_PKT5_llPT6_ll16rocsparse_order_21rocsparse_index_base_
	.p2align	8
	.type	_ZN9rocsparse31csrmmnn_row_split_shared_kernelILj256ELj8E21rocsparse_complex_numIfEllS2_S2_S2_EEvNS_24const_host_device_scalarIT1_EES5_bbbT3_S6_llPKT2_PKS6_PKT4_PKT5_llPT6_ll16rocsparse_order_21rocsparse_index_base_,@function
_ZN9rocsparse31csrmmnn_row_split_shared_kernelILj256ELj8E21rocsparse_complex_numIfEllS2_S2_S2_EEvNS_24const_host_device_scalarIT1_EES5_bbbT3_S6_llPKT2_PKS6_PKT4_PKT5_llPT6_ll16rocsparse_order_21rocsparse_index_base_: ; @_ZN9rocsparse31csrmmnn_row_split_shared_kernelILj256ELj8E21rocsparse_complex_numIfEllS2_S2_S2_EEvNS_24const_host_device_scalarIT1_EES5_bbbT3_S6_llPKT2_PKS6_PKT4_PKT5_llPT6_ll16rocsparse_order_21rocsparse_index_base_
; %bb.0:
	s_clause 0x1
	s_load_b32 s33, s[0:1], 0x10
	s_load_b128 s[4:7], s[0:1], 0x0
	s_or_b32 s2, s0, 8
	s_wait_kmcnt 0x0
	s_bitcmp1_b32 s33, 0
	s_cselect_b32 s3, s0, s4
	s_cselect_b32 s4, s1, s5
	s_delay_alu instid0(SALU_CYCLE_1)
	v_dual_mov_b32 v1, s3 :: v_dual_mov_b32 v2, s4
	s_cselect_b32 s2, s2, s6
	s_cselect_b32 s3, s1, s7
	flat_load_b64 v[11:12], v[1:2]
	s_wait_alu 0xfffe
	v_dual_mov_b32 v1, s2 :: v_dual_mov_b32 v2, s3
	flat_load_b64 v[5:6], v[1:2]
	s_wait_loadcnt_dscnt 0x101
	v_cmp_eq_f32_e32 vcc_lo, 0, v11
	v_cmp_eq_f32_e64 s2, 0, v12
	s_and_b32 s4, vcc_lo, s2
	s_mov_b32 s2, -1
	s_wait_alu 0xfffe
	s_and_saveexec_b32 s3, s4
	s_cbranch_execz .LBB8_2
; %bb.1:
	s_wait_loadcnt_dscnt 0x0
	v_cmp_neq_f32_e32 vcc_lo, 1.0, v5
	v_cmp_neq_f32_e64 s2, 0, v6
	s_or_b32 s2, vcc_lo, s2
	s_wait_alu 0xfffe
	s_or_not1_b32 s2, s2, exec_lo
.LBB8_2:
	s_wait_alu 0xfffe
	s_or_b32 exec_lo, exec_lo, s3
	s_and_saveexec_b32 s3, s2
	s_cbranch_execz .LBB8_23
; %bb.3:
	s_load_b512 s[4:19], s[0:1], 0x18
	v_lshl_or_b32 v1, ttmp9, 8, v0
	v_mov_b32_e32 v10, 0
	s_delay_alu instid0(VALU_DEP_2) | instskip(SKIP_1) | instid1(VALU_DEP_1)
	v_lshrrev_b32_e32 v9, 3, v1
	s_wait_kmcnt 0x0
	v_cmp_gt_i64_e32 vcc_lo, s[4:5], v[9:10]
	s_and_b32 exec_lo, exec_lo, vcc_lo
	s_cbranch_execz .LBB8_23
; %bb.4:
	s_mov_b32 s5, 0
	s_lshr_b32 s4, ttmp7, 16
	v_dual_mov_b32 v8, v10 :: v_dual_lshlrev_b32 v21, 3, v9
	s_wait_alu 0xfffe
	s_mul_u64 s[2:3], s[8:9], s[4:5]
	v_and_b32_e32 v22, 7, v0
	s_wait_alu 0xfffe
	s_lshl_b64 s[2:3], s[2:3], 3
	v_mov_b32_e32 v28, v10
	s_wait_alu 0xfffe
	s_add_nc_u64 s[2:3], s[12:13], s[2:3]
	global_load_b128 v[1:4], v21, s[2:3]
	s_clause 0x1
	s_load_b256 s[20:27], s[0:1], 0x58
	s_load_b128 s[28:31], s[0:1], 0x78
	s_and_b32 s0, ttmp7, 0xffff
	s_mov_b32 s3, exec_lo
	s_wait_alu 0xfffe
	v_lshl_or_b32 v7, s0, 3, v22
	s_wait_loadcnt 0x0
	v_cmpx_lt_i64_e64 v[1:2], v[3:4]
	s_cbranch_execz .LBB8_12
; %bb.5:
	s_wait_kmcnt 0x0
	v_mad_co_u64_u32 v[13:14], null, s20, v7, 0
	v_mad_co_u64_u32 v[15:16], null, s10, s4, v[1:2]
	v_sub_co_u32 v3, vcc_lo, v3, s31
	s_delay_alu instid0(VALU_DEP_1) | instskip(NEXT) | instid1(VALU_DEP_4)
	v_subrev_co_ci_u32_e64 v4, null, 0, v4, vcc_lo
	v_mov_b32_e32 v10, v14
	v_lshlrev_b32_e32 v14, 3, v0
	v_sub_co_u32 v0, vcc_lo, v1, s31
	s_wait_alu 0xfffd
	v_subrev_co_ci_u32_e64 v1, null, 0, v2, vcc_lo
	v_mad_co_u64_u32 v[17:18], null, s21, v7, v[10:11]
	v_and_b32_e32 v2, 0x7c0, v14
	v_add_co_u32 v15, s1, v15, v22
	v_lshlrev_b32_e32 v18, 3, v22
	s_bitcmp1_b32 s33, 8
	s_delay_alu instid0(VALU_DEP_3)
	v_or_b32_e32 v23, 0x800, v2
	v_mov_b32_e32 v14, v17
	v_mad_co_u64_u32 v[16:17], null, s11, s4, v[16:17]
	s_cselect_b32 vcc_lo, -1, 0
	s_bitcmp1_b32 s33, 16
	v_lshlrev_b64_e32 v[13:14], 3, v[13:14]
	v_or_b32_e32 v24, v2, v18
	v_or_b32_e32 v25, v23, v18
	s_mul_u64 s[10:11], s[22:23], s[4:5]
	v_add_co_ci_u32_e64 v16, null, 0, v16, s1
	v_sub_co_u32 v15, s1, v15, s31
	s_cselect_b32 s8, -1, 0
	s_wait_alu 0xf1ff
	v_subrev_co_ci_u32_e64 v16, null, 0, v16, s1
	v_add_co_u32 v17, s1, s18, v13
	s_wait_alu 0xf1ff
	v_add_co_ci_u32_e64 v18, null, s19, v14, s1
	s_delay_alu instid0(VALU_DEP_3)
	v_lshlrev_b64_e32 v[13:14], 3, v[15:16]
	s_wait_alu 0xfffe
	s_lshl_b64 s[10:11], s[10:11], 3
	v_cmp_gt_i64_e64 s0, s[6:7], v[7:8]
	s_wait_alu 0xfffe
	v_add_co_u32 v26, s1, v17, s10
	s_wait_alu 0xf1ff
	v_add_co_ci_u32_e64 v27, null, s11, v18, s1
	v_add_co_u32 v15, s1, s16, v13
	s_wait_alu 0xf1ff
	v_add_co_ci_u32_e64 v16, null, s17, v14, s1
	;; [unrolled: 3-line block ×3, first 2 shown]
	v_add_co_u32 v15, s1, v15, 4
	v_mov_b32_e32 v10, 0
	s_wait_alu 0xf1ff
	v_add_co_ci_u32_e64 v16, null, 0, v16, s1
	v_mov_b32_e32 v28, 0
	s_mov_b32 s10, s31
	s_mov_b32 s9, s5
	s_branch .LBB8_7
.LBB8_6:                                ;   in Loop: Header=BB8_7 Depth=1
	s_wait_alu 0xfffe
	s_or_b32 exec_lo, exec_lo, s2
	v_add_co_u32 v0, s1, v0, 8
	s_wait_alu 0xf1ff
	v_add_co_ci_u32_e64 v1, null, 0, v1, s1
	v_add_co_u32 v13, s1, v13, 64
	s_wait_alu 0xf1ff
	v_add_co_ci_u32_e64 v14, null, 0, v14, s1
	s_delay_alu instid0(VALU_DEP_3)
	v_cmp_ge_i64_e64 s1, v[0:1], v[3:4]
	v_add_co_u32 v15, s2, v15, 64
	s_wait_alu 0xf1ff
	v_add_co_ci_u32_e64 v16, null, 0, v16, s2
	s_or_b32 s9, s1, s9
	s_wait_alu 0xfffe
	s_and_not1_b32 exec_lo, exec_lo, s9
	s_cbranch_execz .LBB8_11
.LBB8_7:                                ; =>This Inner Loop Header: Depth=1
	v_add_co_u32 v17, s1, v22, v0
	s_wait_alu 0xf1ff
	v_add_co_ci_u32_e64 v18, null, 0, v1, s1
	v_mov_b32_e32 v19, 0
	v_mov_b32_e32 v20, 0
	s_wait_dscnt 0x0
	s_delay_alu instid0(VALU_DEP_3)
	v_cmp_lt_i64_e64 s1, v[17:18], v[3:4]
	v_dual_mov_b32 v17, 0 :: v_dual_mov_b32 v18, 0
	s_barrier_signal -1
	s_barrier_wait -1
	global_inv scope:SCOPE_SE
	s_and_saveexec_b32 s2, s1
	s_cbranch_execz .LBB8_9
; %bb.8:                                ;   in Loop: Header=BB8_7 Depth=1
	global_load_b64 v[17:18], v[15:16], off offset:-4
	global_load_b64 v[19:20], v[13:14], off
	s_wait_loadcnt 0x1
	v_xor_b32_e32 v29, 0x80000000, v18
	s_wait_loadcnt 0x0
	s_wait_alu 0xfffe
	v_sub_co_u32 v19, s1, v19, s10
	s_wait_alu 0xf1ff
	v_subrev_co_ci_u32_e64 v20, null, 0, v20, s1
	v_cndmask_b32_e32 v18, v18, v29, vcc_lo
.LBB8_9:                                ;   in Loop: Header=BB8_7 Depth=1
	s_wait_alu 0xfffe
	s_or_b32 exec_lo, exec_lo, s2
	ds_store_b64 v24, v[19:20]
	ds_store_b64 v25, v[17:18]
	s_wait_loadcnt_dscnt 0x0
	s_barrier_signal -1
	s_barrier_wait -1
	global_inv scope:SCOPE_SE
	s_and_saveexec_b32 s2, s0
	s_cbranch_execz .LBB8_6
; %bb.10:                               ;   in Loop: Header=BB8_7 Depth=1
	ds_load_b128 v[17:20], v2
	ds_load_b128 v[29:32], v2 offset:16
	s_wait_dscnt 0x1
	v_lshlrev_b64_e32 v[17:18], 3, v[17:18]
	v_lshlrev_b64_e32 v[19:20], 3, v[19:20]
	s_wait_dscnt 0x0
	v_lshlrev_b64_e32 v[29:30], 3, v[29:30]
	v_lshlrev_b64_e32 v[31:32], 3, v[31:32]
	s_delay_alu instid0(VALU_DEP_4)
	v_add_co_u32 v17, s1, v26, v17
	s_wait_alu 0xf1ff
	v_add_co_ci_u32_e64 v18, null, v27, v18, s1
	v_add_co_u32 v35, s1, v26, v19
	s_wait_alu 0xf1ff
	v_add_co_ci_u32_e64 v36, null, v27, v20, s1
	global_load_b64 v[33:34], v[17:18], off
	v_add_co_u32 v29, s1, v26, v29
	s_wait_alu 0xf1ff
	v_add_co_ci_u32_e64 v30, null, v27, v30, s1
	global_load_b64 v[35:36], v[35:36], off
	v_add_co_u32 v39, s1, v26, v31
	global_load_b64 v[37:38], v[29:30], off
	ds_load_b128 v[17:20], v2 offset:32
	s_wait_alu 0xf1ff
	v_add_co_ci_u32_e64 v40, null, v27, v32, s1
	ds_load_b128 v[29:32], v2 offset:48
	global_load_b64 v[39:40], v[39:40], off
	s_wait_dscnt 0x1
	v_lshlrev_b64_e32 v[17:18], 3, v[17:18]
	v_lshlrev_b64_e32 v[19:20], 3, v[19:20]
	s_delay_alu instid0(VALU_DEP_2) | instskip(SKIP_1) | instid1(VALU_DEP_3)
	v_add_co_u32 v17, s1, v26, v17
	s_wait_alu 0xf1ff
	v_add_co_ci_u32_e64 v18, null, v27, v18, s1
	global_load_b64 v[41:42], v[17:18], off
	v_add_co_u32 v17, s1, v26, v19
	s_wait_alu 0xf1ff
	v_add_co_ci_u32_e64 v18, null, v27, v20, s1
	s_wait_dscnt 0x0
	v_lshlrev_b64_e32 v[19:20], 3, v[29:30]
	global_load_b64 v[43:44], v[17:18], off
	v_add_co_u32 v17, s1, v26, v19
	s_wait_alu 0xf1ff
	v_add_co_ci_u32_e64 v18, null, v27, v20, s1
	v_lshlrev_b64_e32 v[19:20], 3, v[31:32]
	global_load_b64 v[45:46], v[17:18], off
	v_add_co_u32 v17, s1, v26, v19
	s_wait_alu 0xf1ff
	v_add_co_ci_u32_e64 v18, null, v27, v20, s1
	global_load_b64 v[47:48], v[17:18], off
	ds_load_b128 v[17:20], v23
	ds_load_b128 v[29:32], v23 offset:16
	s_wait_loadcnt 0x7
	v_cndmask_b32_e64 v34, v34, -v34, s8
	s_wait_dscnt 0x1
	v_fmac_f32_e32 v28, v17, v33
	v_fmac_f32_e32 v10, v18, v33
	s_delay_alu instid0(VALU_DEP_2) | instskip(NEXT) | instid1(VALU_DEP_2)
	v_fma_f32 v18, -v18, v34, v28
	v_fmac_f32_e32 v10, v17, v34
	s_wait_loadcnt 0x6
	v_cndmask_b32_e64 v17, v36, -v36, s8
	s_wait_loadcnt 0x5
	v_cndmask_b32_e64 v33, v38, -v38, s8
	v_fmac_f32_e32 v18, v19, v35
	v_fmac_f32_e32 v10, v20, v35
	s_delay_alu instid0(VALU_DEP_2) | instskip(NEXT) | instid1(VALU_DEP_2)
	v_fma_f32 v28, -v20, v17, v18
	v_fmac_f32_e32 v10, v19, v17
	ds_load_b128 v[17:20], v23 offset:32
	s_wait_dscnt 0x1
	v_fmac_f32_e32 v28, v29, v37
	v_fmac_f32_e32 v10, v30, v37
	s_delay_alu instid0(VALU_DEP_2) | instskip(NEXT) | instid1(VALU_DEP_2)
	v_fma_f32 v28, -v30, v33, v28
	v_fmac_f32_e32 v10, v29, v33
	s_wait_loadcnt 0x4
	v_cndmask_b32_e64 v29, v40, -v40, s8
	s_delay_alu instid0(VALU_DEP_3) | instskip(NEXT) | instid1(VALU_DEP_3)
	v_fmac_f32_e32 v28, v31, v39
	v_fmac_f32_e32 v10, v32, v39
	s_delay_alu instid0(VALU_DEP_2) | instskip(NEXT) | instid1(VALU_DEP_2)
	v_fma_f32 v32, -v32, v29, v28
	v_fmac_f32_e32 v10, v31, v29
	ds_load_b128 v[28:31], v23 offset:48
	s_wait_loadcnt 0x3
	v_cndmask_b32_e64 v33, v42, -v42, s8
	s_wait_dscnt 0x1
	v_fmac_f32_e32 v32, v17, v41
	v_fmac_f32_e32 v10, v18, v41
	s_delay_alu instid0(VALU_DEP_2) | instskip(NEXT) | instid1(VALU_DEP_2)
	v_fma_f32 v18, -v18, v33, v32
	v_fmac_f32_e32 v10, v17, v33
	s_wait_loadcnt 0x2
	v_cndmask_b32_e64 v17, v44, -v44, s8
	s_delay_alu instid0(VALU_DEP_3) | instskip(NEXT) | instid1(VALU_DEP_3)
	v_fmac_f32_e32 v18, v19, v43
	v_fmac_f32_e32 v10, v20, v43
	s_delay_alu instid0(VALU_DEP_2) | instskip(NEXT) | instid1(VALU_DEP_2)
	v_fma_f32 v18, -v20, v17, v18
	v_fmac_f32_e32 v10, v19, v17
	s_wait_loadcnt 0x1
	v_cndmask_b32_e64 v17, v46, -v46, s8
	s_wait_dscnt 0x0
	v_fmac_f32_e32 v18, v28, v45
	v_fmac_f32_e32 v10, v29, v45
	s_delay_alu instid0(VALU_DEP_2) | instskip(NEXT) | instid1(VALU_DEP_2)
	v_fma_f32 v18, -v29, v17, v18
	v_fmac_f32_e32 v10, v28, v17
	s_wait_loadcnt 0x0
	v_cndmask_b32_e64 v17, v48, -v48, s8
	s_delay_alu instid0(VALU_DEP_3) | instskip(NEXT) | instid1(VALU_DEP_3)
	v_fmac_f32_e32 v18, v30, v47
	v_fmac_f32_e32 v10, v31, v47
	s_delay_alu instid0(VALU_DEP_2) | instskip(NEXT) | instid1(VALU_DEP_2)
	v_fma_f32 v28, -v31, v17, v18
	v_fmac_f32_e32 v10, v30, v17
	s_branch .LBB8_6
.LBB8_11:
	s_or_b32 exec_lo, exec_lo, s9
.LBB8_12:
	s_delay_alu instid0(SALU_CYCLE_1)
	s_or_b32 exec_lo, exec_lo, s3
	v_cmp_gt_i64_e32 vcc_lo, s[6:7], v[7:8]
	s_and_b32 exec_lo, exec_lo, vcc_lo
	s_cbranch_execz .LBB8_23
; %bb.13:
	s_wait_dscnt 0x0
	v_cmp_neq_f32_e32 vcc_lo, 0, v5
	v_cmp_neq_f32_e64 s0, 0, v6
	v_mul_f32_e64 v0, v10, -v12
	v_mul_f32_e32 v1, v11, v10
	s_or_b32 s3, vcc_lo, s0
	s_delay_alu instid0(VALU_DEP_2) | instskip(NEXT) | instid1(VALU_DEP_2)
	v_fmac_f32_e32 v0, v11, v28
	v_fmac_f32_e32 v1, v12, v28
	s_wait_kmcnt 0x0
	s_cmp_lg_u32 s30, 1
	s_mul_u64 s[0:1], s[28:29], s[4:5]
	s_cselect_b32 s2, -1, 0
	s_wait_alu 0xfffe
	s_and_saveexec_b32 s4, s3
	s_wait_alu 0xfffe
	s_xor_b32 s3, exec_lo, s4
	s_cbranch_execz .LBB8_18
; %bb.14:
	s_and_b32 vcc_lo, exec_lo, s2
	s_mov_b32 s4, -1
	s_wait_alu 0xfffe
	s_cbranch_vccz .LBB8_16
; %bb.15:
	v_mad_co_u64_u32 v[2:3], null, s26, v9, 0
	s_lshl_b64 s[4:5], s[0:1], 3
	v_mad_co_u64_u32 v[3:4], null, s27, v9, v[3:4]
	v_lshlrev_b32_e32 v4, 3, v7
	s_delay_alu instid0(VALU_DEP_2) | instskip(NEXT) | instid1(VALU_DEP_1)
	v_lshlrev_b64_e32 v[2:3], 3, v[2:3]
	v_add_co_u32 v2, vcc_lo, s24, v2
	s_wait_alu 0xfffd
	s_delay_alu instid0(VALU_DEP_2) | instskip(NEXT) | instid1(VALU_DEP_2)
	v_add_co_ci_u32_e64 v3, null, s25, v3, vcc_lo
	v_add_co_u32 v2, vcc_lo, v2, v4
	s_wait_alu 0xfffd
	s_delay_alu instid0(VALU_DEP_2) | instskip(SKIP_1) | instid1(VALU_DEP_2)
	v_add_co_ci_u32_e64 v3, null, 0, v3, vcc_lo
	s_wait_alu 0xfffe
	v_add_co_u32 v2, vcc_lo, v2, s4
	s_wait_alu 0xfffd
	s_delay_alu instid0(VALU_DEP_2)
	v_add_co_ci_u32_e64 v3, null, s5, v3, vcc_lo
	s_mov_b32 s4, 0
	global_load_b64 v[8:9], v[2:3], off
	s_wait_loadcnt 0x0
	v_fma_f32 v4, v5, v8, v0
	v_fma_f32 v11, v6, v8, v1
	s_delay_alu instid0(VALU_DEP_2) | instskip(NEXT) | instid1(VALU_DEP_2)
	v_fma_f32 v10, -v6, v9, v4
	v_fmac_f32_e32 v11, v5, v9
	global_store_b64 v[2:3], v[10:11], off
.LBB8_16:
	s_wait_alu 0xfffe
	s_and_not1_b32 vcc_lo, exec_lo, s4
                                        ; implicit-def: $vgpr9_vgpr10
	s_wait_alu 0xfffe
	s_cbranch_vccnz .LBB8_18
; %bb.17:
	v_mad_co_u64_u32 v[2:3], null, s26, v7, 0
	s_lshl_b64 s[4:5], s[0:1], 3
                                        ; implicit-def: $vgpr9_vgpr10
	v_mad_co_u64_u32 v[3:4], null, s27, v7, v[3:4]
	s_delay_alu instid0(VALU_DEP_1) | instskip(NEXT) | instid1(VALU_DEP_1)
	v_lshlrev_b64_e32 v[2:3], 3, v[2:3]
	v_add_co_u32 v2, vcc_lo, s24, v2
	s_wait_alu 0xfffd
	s_delay_alu instid0(VALU_DEP_2) | instskip(NEXT) | instid1(VALU_DEP_2)
	v_add_co_ci_u32_e64 v3, null, s25, v3, vcc_lo
	v_add_co_u32 v2, vcc_lo, v2, v21
	s_wait_alu 0xfffd
	s_delay_alu instid0(VALU_DEP_2) | instskip(SKIP_1) | instid1(VALU_DEP_2)
	v_add_co_ci_u32_e64 v3, null, 0, v3, vcc_lo
                                        ; implicit-def: $vgpr21
	s_wait_alu 0xfffe
	v_add_co_u32 v2, vcc_lo, v2, s4
	s_wait_alu 0xfffd
	s_delay_alu instid0(VALU_DEP_2) | instskip(SKIP_4) | instid1(VALU_DEP_2)
	v_add_co_ci_u32_e64 v3, null, s5, v3, vcc_lo
	global_load_b64 v[7:8], v[2:3], off
	s_wait_loadcnt 0x0
	v_fmac_f32_e32 v0, v5, v7
	v_fmac_f32_e32 v1, v6, v7
	v_fma_f32 v0, -v6, v8, v0
	s_delay_alu instid0(VALU_DEP_2)
	v_fmac_f32_e32 v1, v5, v8
                                        ; implicit-def: $vgpr7_vgpr8
	global_store_b64 v[2:3], v[0:1], off
                                        ; implicit-def: $vgpr0
.LBB8_18:
	s_wait_alu 0xfffe
	s_and_not1_saveexec_b32 s3, s3
	s_cbranch_execz .LBB8_23
; %bb.19:
	s_and_b32 vcc_lo, exec_lo, s2
	s_mov_b32 s2, -1
	s_wait_alu 0xfffe
	s_cbranch_vccz .LBB8_21
; %bb.20:
	v_mad_co_u64_u32 v[2:3], null, s26, v9, 0
	s_lshl_b64 s[2:3], s[0:1], 3
	v_mad_co_u64_u32 v[3:4], null, s27, v9, v[3:4]
	v_lshlrev_b32_e32 v4, 3, v7
	s_delay_alu instid0(VALU_DEP_2) | instskip(NEXT) | instid1(VALU_DEP_1)
	v_lshlrev_b64_e32 v[2:3], 3, v[2:3]
	v_add_co_u32 v2, vcc_lo, s24, v2
	s_wait_alu 0xfffd
	s_delay_alu instid0(VALU_DEP_2) | instskip(NEXT) | instid1(VALU_DEP_2)
	v_add_co_ci_u32_e64 v3, null, s25, v3, vcc_lo
	v_add_co_u32 v2, vcc_lo, v2, v4
	s_wait_alu 0xfffd
	s_delay_alu instid0(VALU_DEP_2) | instskip(SKIP_1) | instid1(VALU_DEP_2)
	v_add_co_ci_u32_e64 v3, null, 0, v3, vcc_lo
	s_wait_alu 0xfffe
	v_add_co_u32 v2, vcc_lo, v2, s2
	s_wait_alu 0xfffd
	s_delay_alu instid0(VALU_DEP_2)
	v_add_co_ci_u32_e64 v3, null, s3, v3, vcc_lo
	s_mov_b32 s2, 0
	global_store_b64 v[2:3], v[0:1], off
.LBB8_21:
	s_wait_alu 0xfffe
	s_and_not1_b32 vcc_lo, exec_lo, s2
	s_wait_alu 0xfffe
	s_cbranch_vccnz .LBB8_23
; %bb.22:
	v_mad_co_u64_u32 v[2:3], null, s26, v7, 0
	s_lshl_b64 s[0:1], s[0:1], 3
	v_mad_co_u64_u32 v[3:4], null, s27, v7, v[3:4]
	s_delay_alu instid0(VALU_DEP_1) | instskip(NEXT) | instid1(VALU_DEP_1)
	v_lshlrev_b64_e32 v[2:3], 3, v[2:3]
	v_add_co_u32 v2, vcc_lo, s24, v2
	s_wait_alu 0xfffd
	s_delay_alu instid0(VALU_DEP_2) | instskip(NEXT) | instid1(VALU_DEP_2)
	v_add_co_ci_u32_e64 v3, null, s25, v3, vcc_lo
	v_add_co_u32 v2, vcc_lo, v2, v21
	s_wait_alu 0xfffd
	s_delay_alu instid0(VALU_DEP_2) | instskip(SKIP_1) | instid1(VALU_DEP_2)
	v_add_co_ci_u32_e64 v3, null, 0, v3, vcc_lo
	s_wait_alu 0xfffe
	v_add_co_u32 v2, vcc_lo, v2, s0
	s_wait_alu 0xfffd
	s_delay_alu instid0(VALU_DEP_2)
	v_add_co_ci_u32_e64 v3, null, s1, v3, vcc_lo
	global_store_b64 v[2:3], v[0:1], off
.LBB8_23:
	s_endpgm
	.section	.rodata,"a",@progbits
	.p2align	6, 0x0
	.amdhsa_kernel _ZN9rocsparse31csrmmnn_row_split_shared_kernelILj256ELj8E21rocsparse_complex_numIfEllS2_S2_S2_EEvNS_24const_host_device_scalarIT1_EES5_bbbT3_S6_llPKT2_PKS6_PKT4_PKT5_llPT6_ll16rocsparse_order_21rocsparse_index_base_
		.amdhsa_group_segment_fixed_size 4096
		.amdhsa_private_segment_fixed_size 0
		.amdhsa_kernarg_size 136
		.amdhsa_user_sgpr_count 2
		.amdhsa_user_sgpr_dispatch_ptr 0
		.amdhsa_user_sgpr_queue_ptr 0
		.amdhsa_user_sgpr_kernarg_segment_ptr 1
		.amdhsa_user_sgpr_dispatch_id 0
		.amdhsa_user_sgpr_private_segment_size 0
		.amdhsa_wavefront_size32 1
		.amdhsa_uses_dynamic_stack 0
		.amdhsa_enable_private_segment 0
		.amdhsa_system_sgpr_workgroup_id_x 1
		.amdhsa_system_sgpr_workgroup_id_y 1
		.amdhsa_system_sgpr_workgroup_id_z 1
		.amdhsa_system_sgpr_workgroup_info 0
		.amdhsa_system_vgpr_workitem_id 0
		.amdhsa_next_free_vgpr 49
		.amdhsa_next_free_sgpr 34
		.amdhsa_reserve_vcc 1
		.amdhsa_float_round_mode_32 0
		.amdhsa_float_round_mode_16_64 0
		.amdhsa_float_denorm_mode_32 3
		.amdhsa_float_denorm_mode_16_64 3
		.amdhsa_fp16_overflow 0
		.amdhsa_workgroup_processor_mode 1
		.amdhsa_memory_ordered 1
		.amdhsa_forward_progress 1
		.amdhsa_inst_pref_size 19
		.amdhsa_round_robin_scheduling 0
		.amdhsa_exception_fp_ieee_invalid_op 0
		.amdhsa_exception_fp_denorm_src 0
		.amdhsa_exception_fp_ieee_div_zero 0
		.amdhsa_exception_fp_ieee_overflow 0
		.amdhsa_exception_fp_ieee_underflow 0
		.amdhsa_exception_fp_ieee_inexact 0
		.amdhsa_exception_int_div_zero 0
	.end_amdhsa_kernel
	.section	.text._ZN9rocsparse31csrmmnn_row_split_shared_kernelILj256ELj8E21rocsparse_complex_numIfEllS2_S2_S2_EEvNS_24const_host_device_scalarIT1_EES5_bbbT3_S6_llPKT2_PKS6_PKT4_PKT5_llPT6_ll16rocsparse_order_21rocsparse_index_base_,"axG",@progbits,_ZN9rocsparse31csrmmnn_row_split_shared_kernelILj256ELj8E21rocsparse_complex_numIfEllS2_S2_S2_EEvNS_24const_host_device_scalarIT1_EES5_bbbT3_S6_llPKT2_PKS6_PKT4_PKT5_llPT6_ll16rocsparse_order_21rocsparse_index_base_,comdat
.Lfunc_end8:
	.size	_ZN9rocsparse31csrmmnn_row_split_shared_kernelILj256ELj8E21rocsparse_complex_numIfEllS2_S2_S2_EEvNS_24const_host_device_scalarIT1_EES5_bbbT3_S6_llPKT2_PKS6_PKT4_PKT5_llPT6_ll16rocsparse_order_21rocsparse_index_base_, .Lfunc_end8-_ZN9rocsparse31csrmmnn_row_split_shared_kernelILj256ELj8E21rocsparse_complex_numIfEllS2_S2_S2_EEvNS_24const_host_device_scalarIT1_EES5_bbbT3_S6_llPKT2_PKS6_PKT4_PKT5_llPT6_ll16rocsparse_order_21rocsparse_index_base_
                                        ; -- End function
	.set _ZN9rocsparse31csrmmnn_row_split_shared_kernelILj256ELj8E21rocsparse_complex_numIfEllS2_S2_S2_EEvNS_24const_host_device_scalarIT1_EES5_bbbT3_S6_llPKT2_PKS6_PKT4_PKT5_llPT6_ll16rocsparse_order_21rocsparse_index_base_.num_vgpr, 49
	.set _ZN9rocsparse31csrmmnn_row_split_shared_kernelILj256ELj8E21rocsparse_complex_numIfEllS2_S2_S2_EEvNS_24const_host_device_scalarIT1_EES5_bbbT3_S6_llPKT2_PKS6_PKT4_PKT5_llPT6_ll16rocsparse_order_21rocsparse_index_base_.num_agpr, 0
	.set _ZN9rocsparse31csrmmnn_row_split_shared_kernelILj256ELj8E21rocsparse_complex_numIfEllS2_S2_S2_EEvNS_24const_host_device_scalarIT1_EES5_bbbT3_S6_llPKT2_PKS6_PKT4_PKT5_llPT6_ll16rocsparse_order_21rocsparse_index_base_.numbered_sgpr, 34
	.set _ZN9rocsparse31csrmmnn_row_split_shared_kernelILj256ELj8E21rocsparse_complex_numIfEllS2_S2_S2_EEvNS_24const_host_device_scalarIT1_EES5_bbbT3_S6_llPKT2_PKS6_PKT4_PKT5_llPT6_ll16rocsparse_order_21rocsparse_index_base_.num_named_barrier, 0
	.set _ZN9rocsparse31csrmmnn_row_split_shared_kernelILj256ELj8E21rocsparse_complex_numIfEllS2_S2_S2_EEvNS_24const_host_device_scalarIT1_EES5_bbbT3_S6_llPKT2_PKS6_PKT4_PKT5_llPT6_ll16rocsparse_order_21rocsparse_index_base_.private_seg_size, 0
	.set _ZN9rocsparse31csrmmnn_row_split_shared_kernelILj256ELj8E21rocsparse_complex_numIfEllS2_S2_S2_EEvNS_24const_host_device_scalarIT1_EES5_bbbT3_S6_llPKT2_PKS6_PKT4_PKT5_llPT6_ll16rocsparse_order_21rocsparse_index_base_.uses_vcc, 1
	.set _ZN9rocsparse31csrmmnn_row_split_shared_kernelILj256ELj8E21rocsparse_complex_numIfEllS2_S2_S2_EEvNS_24const_host_device_scalarIT1_EES5_bbbT3_S6_llPKT2_PKS6_PKT4_PKT5_llPT6_ll16rocsparse_order_21rocsparse_index_base_.uses_flat_scratch, 0
	.set _ZN9rocsparse31csrmmnn_row_split_shared_kernelILj256ELj8E21rocsparse_complex_numIfEllS2_S2_S2_EEvNS_24const_host_device_scalarIT1_EES5_bbbT3_S6_llPKT2_PKS6_PKT4_PKT5_llPT6_ll16rocsparse_order_21rocsparse_index_base_.has_dyn_sized_stack, 0
	.set _ZN9rocsparse31csrmmnn_row_split_shared_kernelILj256ELj8E21rocsparse_complex_numIfEllS2_S2_S2_EEvNS_24const_host_device_scalarIT1_EES5_bbbT3_S6_llPKT2_PKS6_PKT4_PKT5_llPT6_ll16rocsparse_order_21rocsparse_index_base_.has_recursion, 0
	.set _ZN9rocsparse31csrmmnn_row_split_shared_kernelILj256ELj8E21rocsparse_complex_numIfEllS2_S2_S2_EEvNS_24const_host_device_scalarIT1_EES5_bbbT3_S6_llPKT2_PKS6_PKT4_PKT5_llPT6_ll16rocsparse_order_21rocsparse_index_base_.has_indirect_call, 0
	.section	.AMDGPU.csdata,"",@progbits
; Kernel info:
; codeLenInByte = 2416
; TotalNumSgprs: 36
; NumVgprs: 49
; ScratchSize: 0
; MemoryBound: 0
; FloatMode: 240
; IeeeMode: 1
; LDSByteSize: 4096 bytes/workgroup (compile time only)
; SGPRBlocks: 0
; VGPRBlocks: 6
; NumSGPRsForWavesPerEU: 36
; NumVGPRsForWavesPerEU: 49
; Occupancy: 16
; WaveLimiterHint : 0
; COMPUTE_PGM_RSRC2:SCRATCH_EN: 0
; COMPUTE_PGM_RSRC2:USER_SGPR: 2
; COMPUTE_PGM_RSRC2:TRAP_HANDLER: 0
; COMPUTE_PGM_RSRC2:TGID_X_EN: 1
; COMPUTE_PGM_RSRC2:TGID_Y_EN: 1
; COMPUTE_PGM_RSRC2:TGID_Z_EN: 1
; COMPUTE_PGM_RSRC2:TIDIG_COMP_CNT: 0
	.section	.text._ZN9rocsparse31csrmmnn_row_split_shared_kernelILj256ELj8E21rocsparse_complex_numIdEiiS2_S2_S2_EEvNS_24const_host_device_scalarIT1_EES5_bbbT3_S6_llPKT2_PKS6_PKT4_PKT5_llPT6_ll16rocsparse_order_21rocsparse_index_base_,"axG",@progbits,_ZN9rocsparse31csrmmnn_row_split_shared_kernelILj256ELj8E21rocsparse_complex_numIdEiiS2_S2_S2_EEvNS_24const_host_device_scalarIT1_EES5_bbbT3_S6_llPKT2_PKS6_PKT4_PKT5_llPT6_ll16rocsparse_order_21rocsparse_index_base_,comdat
	.protected	_ZN9rocsparse31csrmmnn_row_split_shared_kernelILj256ELj8E21rocsparse_complex_numIdEiiS2_S2_S2_EEvNS_24const_host_device_scalarIT1_EES5_bbbT3_S6_llPKT2_PKS6_PKT4_PKT5_llPT6_ll16rocsparse_order_21rocsparse_index_base_ ; -- Begin function _ZN9rocsparse31csrmmnn_row_split_shared_kernelILj256ELj8E21rocsparse_complex_numIdEiiS2_S2_S2_EEvNS_24const_host_device_scalarIT1_EES5_bbbT3_S6_llPKT2_PKS6_PKT4_PKT5_llPT6_ll16rocsparse_order_21rocsparse_index_base_
	.globl	_ZN9rocsparse31csrmmnn_row_split_shared_kernelILj256ELj8E21rocsparse_complex_numIdEiiS2_S2_S2_EEvNS_24const_host_device_scalarIT1_EES5_bbbT3_S6_llPKT2_PKS6_PKT4_PKT5_llPT6_ll16rocsparse_order_21rocsparse_index_base_
	.p2align	8
	.type	_ZN9rocsparse31csrmmnn_row_split_shared_kernelILj256ELj8E21rocsparse_complex_numIdEiiS2_S2_S2_EEvNS_24const_host_device_scalarIT1_EES5_bbbT3_S6_llPKT2_PKS6_PKT4_PKT5_llPT6_ll16rocsparse_order_21rocsparse_index_base_,@function
_ZN9rocsparse31csrmmnn_row_split_shared_kernelILj256ELj8E21rocsparse_complex_numIdEiiS2_S2_S2_EEvNS_24const_host_device_scalarIT1_EES5_bbbT3_S6_llPKT2_PKS6_PKT4_PKT5_llPT6_ll16rocsparse_order_21rocsparse_index_base_: ; @_ZN9rocsparse31csrmmnn_row_split_shared_kernelILj256ELj8E21rocsparse_complex_numIdEiiS2_S2_S2_EEvNS_24const_host_device_scalarIT1_EES5_bbbT3_S6_llPKT2_PKS6_PKT4_PKT5_llPT6_ll16rocsparse_order_21rocsparse_index_base_
; %bb.0:
	s_clause 0x2
	s_load_b32 s3, s[0:1], 0x20
	s_load_b64 s[4:5], s[0:1], 0x0
	s_load_b64 s[6:7], s[0:1], 0x10
	s_wait_kmcnt 0x0
	s_bitcmp1_b32 s3, 0
	s_cselect_b32 s2, s0, s4
	s_cselect_b32 s4, s1, s5
	s_delay_alu instid0(SALU_CYCLE_1)
	v_dual_mov_b32 v1, s2 :: v_dual_mov_b32 v2, s4
	s_add_nc_u64 s[4:5], s[0:1], 16
	s_wait_alu 0xfffe
	s_cselect_b32 s2, s4, s6
	s_cselect_b32 s4, s5, s7
	flat_load_b128 v[5:8], v[1:2]
	s_wait_alu 0xfffe
	v_dual_mov_b32 v1, s2 :: v_dual_mov_b32 v2, s4
	flat_load_b128 v[1:4], v[1:2]
	s_wait_loadcnt_dscnt 0x101
	v_cmp_eq_f64_e32 vcc_lo, 0, v[5:6]
	v_cmp_eq_f64_e64 s2, 0, v[7:8]
	s_and_b32 s5, vcc_lo, s2
	s_mov_b32 s2, -1
	s_wait_alu 0xfffe
	s_and_saveexec_b32 s4, s5
	s_cbranch_execz .LBB9_2
; %bb.1:
	s_wait_loadcnt_dscnt 0x0
	v_cmp_neq_f64_e32 vcc_lo, 1.0, v[1:2]
	v_cmp_neq_f64_e64 s2, 0, v[3:4]
	s_or_b32 s2, vcc_lo, s2
	s_wait_alu 0xfffe
	s_or_not1_b32 s2, s2, exec_lo
.LBB9_2:
	s_wait_alu 0xfffe
	s_or_b32 exec_lo, exec_lo, s4
	s_and_saveexec_b32 s4, s2
	s_cbranch_execz .LBB9_23
; %bb.3:
	s_load_b96 s[20:22], s[0:1], 0x20
	v_lshl_or_b32 v9, ttmp9, 8, v0
	s_delay_alu instid0(VALU_DEP_1) | instskip(SKIP_1) | instid1(VALU_DEP_1)
	v_lshrrev_b32_e32 v13, 3, v9
	s_wait_kmcnt 0x0
	v_cmp_gt_i32_e32 vcc_lo, s21, v13
	s_and_b32 exec_lo, exec_lo, vcc_lo
	s_cbranch_execz .LBB9_23
; %bb.4:
	s_load_b512 s[4:19], s[0:1], 0x30
	s_mov_b32 s25, 0
	s_lshr_b32 s24, ttmp7, 16
	v_dual_mov_b32 v14, 0 :: v_dual_lshlrev_b32 v9, 2, v13
	v_dual_mov_b32 v15, 0 :: v_dual_and_b32 v20, 7, v0
	s_and_b32 s2, ttmp7, 0xffff
	v_dual_mov_b32 v16, 0 :: v_dual_mov_b32 v17, 0
	s_wait_alu 0xfffe
	s_delay_alu instid0(VALU_DEP_2)
	v_lshl_or_b32 v19, s2, 3, v20
	v_mov_b32_e32 v18, 0
	s_wait_kmcnt 0x0
	s_mul_u64 s[4:5], s[4:5], s[24:25]
	s_wait_alu 0xfffe
	s_lshl_b64 s[4:5], s[4:5], 2
	s_wait_alu 0xfffe
	s_add_nc_u64 s[4:5], s[8:9], s[4:5]
	s_load_b64 s[8:9], s[0:1], 0x88
	global_load_b64 v[9:10], v9, s[4:5]
	s_mov_b32 s5, exec_lo
	s_wait_loadcnt 0x0
	v_cmpx_lt_i32_e64 v9, v10
	s_cbranch_execz .LBB9_12
; %bb.5:
	v_mad_co_u64_u32 v[11:12], null, s16, v19, 0
	s_wait_kmcnt 0x0
	v_subrev_nc_u32_e32 v21, s9, v10
	v_lshrrev_b32_e32 v23, 3, v0
	v_subrev_nc_u32_e32 v0, s9, v9
	s_bitcmp1_b32 s3, 8
	s_mul_u64 s[6:7], s[6:7], s[24:25]
	s_cselect_b32 s2, -1, 0
	v_mad_co_u64_u32 v[17:18], null, s17, v19, v[12:13]
	v_mov_b32_e32 v15, 0
	s_mul_u64 s[16:17], s[18:19], s[24:25]
	v_mov_b32_e32 v16, 0
	s_bitcmp1_b32 s20, 16
	v_lshl_or_b32 v22, v23, 5, 0x1000
	s_cselect_b32 s3, -1, 0
	s_delay_alu instid0(VALU_DEP_4) | instskip(SKIP_3) | instid1(VALU_DEP_2)
	v_dual_mov_b32 v12, v17 :: v_dual_mov_b32 v17, 0
	v_dual_mov_b32 v18, 0 :: v_dual_lshlrev_b32 v23, 7, v23
	s_wait_alu 0xfffe
	s_lshl_b64 s[16:17], s[16:17], 4
	v_lshlrev_b64_e32 v[9:10], 4, v[11:12]
	v_lshl_or_b32 v24, v20, 2, v22
	v_cmp_gt_i32_e32 vcc_lo, s22, v19
	v_lshl_or_b32 v25, v20, 4, v23
	s_delay_alu instid0(VALU_DEP_4)
	v_add_co_u32 v9, s4, s14, v9
	s_wait_alu 0xf1ff
	v_add_co_ci_u32_e64 v10, null, s15, v10, s4
	s_mov_b32 s14, s25
	s_wait_alu 0xfffe
	v_add_co_u32 v26, s4, v9, s16
	s_wait_alu 0xf1ff
	v_add_co_ci_u32_e64 v27, null, s17, v10, s4
	s_branch .LBB9_7
.LBB9_6:                                ;   in Loop: Header=BB9_7 Depth=1
	s_wait_alu 0xfffe
	s_or_b32 exec_lo, exec_lo, s15
	v_add_nc_u32_e32 v0, 8, v0
	s_delay_alu instid0(VALU_DEP_1)
	v_cmp_ge_i32_e64 s4, v0, v21
	s_or_b32 s14, s4, s14
	s_wait_alu 0xfffe
	s_and_not1_b32 exec_lo, exec_lo, s14
	s_cbranch_execz .LBB9_11
.LBB9_7:                                ; =>This Inner Loop Header: Depth=1
	v_mov_b32_e32 v9, 0
	v_dual_mov_b32 v11, 0 :: v_dual_mov_b32 v28, 0
	v_dual_mov_b32 v10, 0 :: v_dual_add_nc_u32 v29, v20, v0
	v_mov_b32_e32 v12, 0
	s_mov_b32 s15, exec_lo
	s_wait_dscnt 0x0
	s_barrier_signal -1
	s_barrier_wait -1
	global_inv scope:SCOPE_SE
	v_cmpx_lt_i32_e64 v29, v21
	s_cbranch_execz .LBB9_9
; %bb.8:                                ;   in Loop: Header=BB9_7 Depth=1
	v_ashrrev_i32_e32 v10, 31, v29
	v_add_co_u32 v9, s4, s6, v29
	s_wait_alu 0xf1ff
	s_delay_alu instid0(VALU_DEP_2) | instskip(NEXT) | instid1(VALU_DEP_1)
	v_add_co_ci_u32_e64 v10, null, s7, v10, s4
	v_lshlrev_b64_e32 v[11:12], 4, v[9:10]
	v_lshlrev_b64_e32 v[9:10], 2, v[9:10]
	s_delay_alu instid0(VALU_DEP_2) | instskip(SKIP_1) | instid1(VALU_DEP_3)
	v_add_co_u32 v11, s4, s12, v11
	s_wait_alu 0xf1ff
	v_add_co_ci_u32_e64 v12, null, s13, v12, s4
	s_delay_alu instid0(VALU_DEP_3)
	v_add_co_u32 v28, s4, s10, v9
	s_wait_alu 0xf1ff
	v_add_co_ci_u32_e64 v29, null, s11, v10, s4
	global_load_b128 v[9:12], v[11:12], off
	global_load_b32 v28, v[28:29], off
	s_wait_loadcnt 0x1
	v_xor_b32_e32 v29, 0x80000000, v12
	s_wait_loadcnt 0x0
	v_subrev_nc_u32_e32 v28, s9, v28
	s_delay_alu instid0(VALU_DEP_2)
	v_cndmask_b32_e64 v12, v12, v29, s2
.LBB9_9:                                ;   in Loop: Header=BB9_7 Depth=1
	s_wait_alu 0xfffe
	s_or_b32 exec_lo, exec_lo, s15
	ds_store_b32 v24, v28
	ds_store_b128 v25, v[9:12]
	s_wait_loadcnt_dscnt 0x0
	s_barrier_signal -1
	s_barrier_wait -1
	global_inv scope:SCOPE_SE
	s_and_saveexec_b32 s15, vcc_lo
	s_cbranch_execz .LBB9_6
; %bb.10:                               ;   in Loop: Header=BB9_7 Depth=1
	ds_load_b128 v[9:12], v22
	ds_load_b128 v[28:31], v22 offset:16
	ds_load_b128 v[52:55], v23 offset:16
	s_wait_dscnt 0x2
	v_ashrrev_i32_e32 v33, 31, v9
	v_mov_b32_e32 v32, v9
	v_ashrrev_i32_e32 v37, 31, v10
	v_mov_b32_e32 v36, v10
	s_wait_dscnt 0x1
	v_ashrrev_i32_e32 v45, 31, v28
	v_mov_b32_e32 v44, v28
	v_lshlrev_b64_e32 v[32:33], 4, v[32:33]
	v_lshlrev_b64_e32 v[9:10], 4, v[36:37]
	s_delay_alu instid0(VALU_DEP_3) | instskip(NEXT) | instid1(VALU_DEP_3)
	v_lshlrev_b64_e32 v[44:45], 4, v[44:45]
	v_add_co_u32 v32, s4, v26, v32
	s_wait_alu 0xf1ff
	s_delay_alu instid0(VALU_DEP_4) | instskip(NEXT) | instid1(VALU_DEP_4)
	v_add_co_ci_u32_e64 v33, null, v27, v33, s4
	v_add_co_u32 v9, s4, v26, v9
	s_wait_alu 0xf1ff
	v_add_co_ci_u32_e64 v10, null, v27, v10, s4
	s_clause 0x1
	global_load_b128 v[32:35], v[32:33], off
	global_load_b128 v[36:39], v[9:10], off
	v_ashrrev_i32_e32 v10, 31, v11
	v_mov_b32_e32 v9, v11
	s_delay_alu instid0(VALU_DEP_1) | instskip(NEXT) | instid1(VALU_DEP_1)
	v_lshlrev_b64_e32 v[9:10], 4, v[9:10]
	v_add_co_u32 v9, s4, v26, v9
	s_wait_alu 0xf1ff
	s_delay_alu instid0(VALU_DEP_2) | instskip(SKIP_3) | instid1(VALU_DEP_1)
	v_add_co_ci_u32_e64 v10, null, v27, v10, s4
	global_load_b128 v[40:43], v[9:10], off
	v_ashrrev_i32_e32 v10, 31, v12
	v_mov_b32_e32 v9, v12
	v_lshlrev_b64_e32 v[9:10], 4, v[9:10]
	s_delay_alu instid0(VALU_DEP_1) | instskip(SKIP_1) | instid1(VALU_DEP_2)
	v_add_co_u32 v9, s4, v26, v9
	s_wait_alu 0xf1ff
	v_add_co_ci_u32_e64 v10, null, v27, v10, s4
	v_add_co_u32 v48, s4, v26, v44
	s_wait_alu 0xf1ff
	v_add_co_ci_u32_e64 v49, null, v27, v45, s4
	global_load_b128 v[9:12], v[9:10], off
	ds_load_b128 v[44:47], v23
	global_load_b128 v[48:51], v[48:49], off
	s_wait_loadcnt_dscnt 0x400
	v_fma_f64 v[17:18], v[44:45], v[32:33], v[17:18]
	v_fma_f64 v[15:16], v[46:47], v[32:33], v[15:16]
	v_xor_b32_e32 v28, 0x80000000, v35
	s_delay_alu instid0(VALU_DEP_1) | instskip(NEXT) | instid1(VALU_DEP_1)
	v_cndmask_b32_e64 v35, v35, v28, s3
	v_fma_f64 v[32:33], -v[46:47], v[34:35], v[17:18]
	s_delay_alu instid0(VALU_DEP_4) | instskip(SKIP_4) | instid1(VALU_DEP_1)
	v_fma_f64 v[34:35], v[44:45], v[34:35], v[15:16]
	v_ashrrev_i32_e32 v16, 31, v29
	v_mov_b32_e32 v15, v29
	ds_load_b128 v[44:47], v23 offset:48
	v_lshlrev_b64_e32 v[15:16], 4, v[15:16]
	v_add_co_u32 v15, s4, v26, v15
	s_wait_alu 0xf1ff
	s_delay_alu instid0(VALU_DEP_2)
	v_add_co_ci_u32_e64 v16, null, v27, v16, s4
	global_load_b128 v[15:18], v[15:16], off
	s_wait_loadcnt 0x4
	v_fma_f64 v[28:29], v[52:53], v[36:37], v[32:33]
	v_fma_f64 v[32:33], v[54:55], v[36:37], v[34:35]
	v_xor_b32_e32 v34, 0x80000000, v39
	s_delay_alu instid0(VALU_DEP_1) | instskip(NEXT) | instid1(VALU_DEP_1)
	v_cndmask_b32_e64 v39, v39, v34, s3
	v_fma_f64 v[28:29], -v[54:55], v[38:39], v[28:29]
	s_delay_alu instid0(VALU_DEP_4) | instskip(SKIP_4) | instid1(VALU_DEP_2)
	v_fma_f64 v[52:53], v[52:53], v[38:39], v[32:33]
	v_ashrrev_i32_e32 v33, 31, v30
	v_mov_b32_e32 v32, v30
	s_wait_loadcnt 0x3
	v_xor_b32_e32 v30, 0x80000000, v43
	v_lshlrev_b64_e32 v[32:33], 4, v[32:33]
	s_delay_alu instid0(VALU_DEP_2) | instskip(NEXT) | instid1(VALU_DEP_2)
	v_cndmask_b32_e64 v43, v43, v30, s3
	v_add_co_u32 v36, s4, v26, v32
	s_wait_alu 0xf1ff
	s_delay_alu instid0(VALU_DEP_3)
	v_add_co_ci_u32_e64 v37, null, v27, v33, s4
	ds_load_b128 v[32:35], v23 offset:32
	global_load_b128 v[36:39], v[36:37], off
	s_wait_dscnt 0x0
	v_fma_f64 v[28:29], v[32:33], v[40:41], v[28:29]
	v_fma_f64 v[40:41], v[34:35], v[40:41], v[52:53]
	s_delay_alu instid0(VALU_DEP_2) | instskip(NEXT) | instid1(VALU_DEP_2)
	v_fma_f64 v[34:35], -v[34:35], v[42:43], v[28:29]
	v_fma_f64 v[32:33], v[32:33], v[42:43], v[40:41]
	v_ashrrev_i32_e32 v29, 31, v31
	v_mov_b32_e32 v28, v31
	s_delay_alu instid0(VALU_DEP_1) | instskip(NEXT) | instid1(VALU_DEP_1)
	v_lshlrev_b64_e32 v[28:29], 4, v[28:29]
	v_add_co_u32 v28, s4, v26, v28
	s_wait_alu 0xf1ff
	s_delay_alu instid0(VALU_DEP_2)
	v_add_co_ci_u32_e64 v29, null, v27, v29, s4
	global_load_b128 v[28:31], v[28:29], off
	s_wait_loadcnt 0x4
	v_fma_f64 v[34:35], v[44:45], v[9:10], v[34:35]
	v_fma_f64 v[9:10], v[46:47], v[9:10], v[32:33]
	v_xor_b32_e32 v32, 0x80000000, v12
	s_delay_alu instid0(VALU_DEP_1) | instskip(NEXT) | instid1(VALU_DEP_1)
	v_cndmask_b32_e64 v12, v12, v32, s3
	v_fma_f64 v[40:41], -v[46:47], v[11:12], v[34:35]
	s_delay_alu instid0(VALU_DEP_4) | instskip(SKIP_4) | instid1(VALU_DEP_1)
	v_fma_f64 v[42:43], v[44:45], v[11:12], v[9:10]
	ds_load_b128 v[9:12], v23 offset:64
	ds_load_b128 v[32:35], v23 offset:80
	s_wait_loadcnt 0x3
	v_xor_b32_e32 v44, 0x80000000, v51
	v_cndmask_b32_e64 v51, v51, v44, s3
	s_wait_dscnt 0x1
	v_fma_f64 v[40:41], v[9:10], v[48:49], v[40:41]
	v_fma_f64 v[42:43], v[11:12], v[48:49], v[42:43]
	s_delay_alu instid0(VALU_DEP_2) | instskip(NEXT) | instid1(VALU_DEP_2)
	v_fma_f64 v[11:12], -v[11:12], v[50:51], v[40:41]
	v_fma_f64 v[9:10], v[9:10], v[50:51], v[42:43]
	s_wait_loadcnt_dscnt 0x200
	s_delay_alu instid0(VALU_DEP_2) | instskip(NEXT) | instid1(VALU_DEP_2)
	v_fma_f64 v[11:12], v[32:33], v[15:16], v[11:12]
	v_fma_f64 v[9:10], v[34:35], v[15:16], v[9:10]
	v_xor_b32_e32 v15, 0x80000000, v18
	s_delay_alu instid0(VALU_DEP_1) | instskip(NEXT) | instid1(VALU_DEP_1)
	v_cndmask_b32_e64 v18, v18, v15, s3
	v_fma_f64 v[34:35], -v[34:35], v[17:18], v[11:12]
	s_delay_alu instid0(VALU_DEP_4)
	v_fma_f64 v[32:33], v[32:33], v[17:18], v[9:10]
	ds_load_b128 v[9:12], v23 offset:96
	ds_load_b128 v[15:18], v23 offset:112
	s_wait_loadcnt_dscnt 0x101
	v_fma_f64 v[34:35], v[9:10], v[36:37], v[34:35]
	v_fma_f64 v[32:33], v[11:12], v[36:37], v[32:33]
	v_xor_b32_e32 v36, 0x80000000, v39
	s_delay_alu instid0(VALU_DEP_1) | instskip(NEXT) | instid1(VALU_DEP_1)
	v_cndmask_b32_e64 v39, v39, v36, s3
	v_fma_f64 v[11:12], -v[11:12], v[38:39], v[34:35]
	s_delay_alu instid0(VALU_DEP_4) | instskip(SKIP_1) | instid1(VALU_DEP_2)
	v_fma_f64 v[9:10], v[9:10], v[38:39], v[32:33]
	s_wait_loadcnt_dscnt 0x0
	v_fma_f64 v[11:12], v[15:16], v[28:29], v[11:12]
	s_delay_alu instid0(VALU_DEP_2) | instskip(SKIP_1) | instid1(VALU_DEP_1)
	v_fma_f64 v[9:10], v[17:18], v[28:29], v[9:10]
	v_xor_b32_e32 v28, 0x80000000, v31
	v_cndmask_b32_e64 v31, v31, v28, s3
	s_delay_alu instid0(VALU_DEP_1) | instskip(NEXT) | instid1(VALU_DEP_4)
	v_fma_f64 v[17:18], -v[17:18], v[30:31], v[11:12]
	v_fma_f64 v[15:16], v[15:16], v[30:31], v[9:10]
	s_branch .LBB9_6
.LBB9_11:
	s_or_b32 exec_lo, exec_lo, s14
.LBB9_12:
	s_wait_alu 0xfffe
	s_or_b32 exec_lo, exec_lo, s5
	v_cmp_gt_i32_e32 vcc_lo, s22, v19
	s_and_b32 exec_lo, exec_lo, vcc_lo
	s_cbranch_execz .LBB9_23
; %bb.13:
	v_mul_f64_e64 v[9:10], v[15:16], -v[7:8]
	v_mul_f64_e32 v[11:12], v[5:6], v[15:16]
	s_wait_dscnt 0x0
	v_cmp_neq_f64_e32 vcc_lo, 0, v[1:2]
	v_cmp_neq_f64_e64 s2, 0, v[3:4]
	s_clause 0x1
	s_load_b64 s[10:11], s[0:1], 0x80
	s_load_b128 s[4:7], s[0:1], 0x70
	s_wait_kmcnt 0x0
	s_mul_u64 s[0:1], s[10:11], s[24:25]
	v_fma_f64 v[5:6], v[5:6], v[17:18], v[9:10]
	v_fma_f64 v[7:8], v[7:8], v[17:18], v[11:12]
	s_or_b32 s3, vcc_lo, s2
	s_cmp_lg_u32 s8, 1
	s_cselect_b32 s2, -1, 0
	s_wait_alu 0xfffe
	s_and_saveexec_b32 s8, s3
	s_wait_alu 0xfffe
	s_xor_b32 s3, exec_lo, s8
	s_cbranch_execz .LBB9_18
; %bb.14:
	s_and_b32 vcc_lo, exec_lo, s2
	s_mov_b32 s8, -1
	s_cbranch_vccz .LBB9_16
; %bb.15:
	v_mad_co_u64_u32 v[9:10], null, s6, v13, 0
	s_lshl_b64 s[8:9], s[0:1], 4
	v_mov_b32_e32 v0, v10
	s_delay_alu instid0(VALU_DEP_1) | instskip(SKIP_1) | instid1(VALU_DEP_2)
	v_mad_co_u64_u32 v[10:11], null, s7, v13, v[0:1]
	v_lshlrev_b32_e32 v0, 4, v19
	v_lshlrev_b64_e32 v[9:10], 4, v[9:10]
	s_delay_alu instid0(VALU_DEP_1) | instskip(NEXT) | instid1(VALU_DEP_1)
	v_add_co_u32 v9, vcc_lo, s4, v9
	v_add_co_ci_u32_e64 v10, null, s5, v10, vcc_lo
	s_delay_alu instid0(VALU_DEP_2) | instskip(SKIP_1) | instid1(VALU_DEP_2)
	v_add_co_u32 v0, vcc_lo, v9, v0
	s_wait_alu 0xfffd
	v_add_co_ci_u32_e64 v9, null, 0, v10, vcc_lo
	s_wait_alu 0xfffe
	s_delay_alu instid0(VALU_DEP_2) | instskip(SKIP_1) | instid1(VALU_DEP_2)
	v_add_co_u32 v15, vcc_lo, v0, s8
	s_wait_alu 0xfffd
	v_add_co_ci_u32_e64 v16, null, s9, v9, vcc_lo
	s_mov_b32 s8, 0
	global_load_b128 v[9:12], v[15:16], off
	s_wait_loadcnt 0x0
	v_fma_f64 v[17:18], v[1:2], v[9:10], v[5:6]
	v_fma_f64 v[20:21], v[3:4], v[9:10], v[7:8]
	s_delay_alu instid0(VALU_DEP_2) | instskip(NEXT) | instid1(VALU_DEP_2)
	v_fma_f64 v[9:10], -v[3:4], v[11:12], v[17:18]
	v_fma_f64 v[11:12], v[1:2], v[11:12], v[20:21]
	global_store_b128 v[15:16], v[9:12], off
.LBB9_16:
	s_wait_alu 0xfffe
	s_and_not1_b32 vcc_lo, exec_lo, s8
	s_wait_alu 0xfffe
	s_cbranch_vccnz .LBB9_18
; %bb.17:
	v_mad_co_u64_u32 v[9:10], null, s6, v19, 0
	s_lshl_b64 s[8:9], s[0:1], 4
	v_mov_b32_e32 v0, v10
	s_delay_alu instid0(VALU_DEP_1) | instskip(SKIP_1) | instid1(VALU_DEP_2)
	v_mad_co_u64_u32 v[10:11], null, s7, v19, v[0:1]
	v_lshlrev_b64_e32 v[11:12], 4, v[13:14]
                                        ; implicit-def: $vgpr19
	v_lshlrev_b64_e32 v[9:10], 4, v[9:10]
	s_delay_alu instid0(VALU_DEP_1) | instskip(SKIP_1) | instid1(VALU_DEP_2)
	v_add_co_u32 v0, vcc_lo, s4, v9
	s_wait_alu 0xfffd
	v_add_co_ci_u32_e64 v9, null, s5, v10, vcc_lo
	s_delay_alu instid0(VALU_DEP_2) | instskip(SKIP_1) | instid1(VALU_DEP_2)
	v_add_co_u32 v0, vcc_lo, v0, v11
	s_wait_alu 0xfffd
	v_add_co_ci_u32_e64 v9, null, v9, v12, vcc_lo
	s_wait_alu 0xfffe
	s_delay_alu instid0(VALU_DEP_2) | instskip(SKIP_1) | instid1(VALU_DEP_2)
	v_add_co_u32 v13, vcc_lo, v0, s8
	s_wait_alu 0xfffd
	v_add_co_ci_u32_e64 v14, null, s9, v9, vcc_lo
	global_load_b128 v[9:12], v[13:14], off
	s_wait_loadcnt 0x0
	v_fma_f64 v[5:6], v[1:2], v[9:10], v[5:6]
	v_fma_f64 v[7:8], v[3:4], v[9:10], v[7:8]
	s_delay_alu instid0(VALU_DEP_2) | instskip(NEXT) | instid1(VALU_DEP_2)
	v_fma_f64 v[3:4], -v[3:4], v[11:12], v[5:6]
	v_fma_f64 v[5:6], v[1:2], v[11:12], v[7:8]
	global_store_b128 v[13:14], v[3:6], off
                                        ; implicit-def: $vgpr13_vgpr14
                                        ; implicit-def: $vgpr5_vgpr6
.LBB9_18:
	s_wait_alu 0xfffe
	s_and_not1_saveexec_b32 s3, s3
	s_cbranch_execz .LBB9_23
; %bb.19:
	s_and_b32 vcc_lo, exec_lo, s2
	s_mov_b32 s2, -1
	s_wait_alu 0xfffe
	s_cbranch_vccz .LBB9_21
; %bb.20:
	v_mad_co_u64_u32 v[0:1], null, s6, v13, 0
	s_lshl_b64 s[2:3], s[0:1], 4
	v_mad_co_u64_u32 v[1:2], null, s7, v13, v[1:2]
	v_lshlrev_b32_e32 v2, 4, v19
	s_delay_alu instid0(VALU_DEP_2) | instskip(NEXT) | instid1(VALU_DEP_1)
	v_lshlrev_b64_e32 v[0:1], 4, v[0:1]
	v_add_co_u32 v0, vcc_lo, s4, v0
	s_wait_alu 0xfffd
	s_delay_alu instid0(VALU_DEP_2) | instskip(NEXT) | instid1(VALU_DEP_2)
	v_add_co_ci_u32_e64 v1, null, s5, v1, vcc_lo
	v_add_co_u32 v0, vcc_lo, v0, v2
	s_wait_alu 0xfffd
	s_delay_alu instid0(VALU_DEP_2) | instskip(SKIP_1) | instid1(VALU_DEP_2)
	v_add_co_ci_u32_e64 v1, null, 0, v1, vcc_lo
	s_wait_alu 0xfffe
	v_add_co_u32 v0, vcc_lo, v0, s2
	s_wait_alu 0xfffd
	s_delay_alu instid0(VALU_DEP_2)
	v_add_co_ci_u32_e64 v1, null, s3, v1, vcc_lo
	s_mov_b32 s2, 0
	global_store_b128 v[0:1], v[5:8], off
.LBB9_21:
	s_wait_alu 0xfffe
	s_and_not1_b32 vcc_lo, exec_lo, s2
	s_wait_alu 0xfffe
	s_cbranch_vccnz .LBB9_23
; %bb.22:
	v_mad_co_u64_u32 v[0:1], null, s6, v19, 0
	s_lshl_b64 s[0:1], s[0:1], 4
	v_mad_co_u64_u32 v[1:2], null, s7, v19, v[1:2]
	v_lshlrev_b64_e32 v[2:3], 4, v[13:14]
	s_delay_alu instid0(VALU_DEP_2) | instskip(NEXT) | instid1(VALU_DEP_1)
	v_lshlrev_b64_e32 v[0:1], 4, v[0:1]
	v_add_co_u32 v0, vcc_lo, s4, v0
	s_wait_alu 0xfffd
	s_delay_alu instid0(VALU_DEP_2) | instskip(NEXT) | instid1(VALU_DEP_2)
	v_add_co_ci_u32_e64 v1, null, s5, v1, vcc_lo
	v_add_co_u32 v0, vcc_lo, v0, v2
	s_wait_alu 0xfffd
	s_delay_alu instid0(VALU_DEP_2) | instskip(SKIP_1) | instid1(VALU_DEP_2)
	v_add_co_ci_u32_e64 v1, null, v1, v3, vcc_lo
	s_wait_alu 0xfffe
	v_add_co_u32 v0, vcc_lo, v0, s0
	s_wait_alu 0xfffd
	s_delay_alu instid0(VALU_DEP_2)
	v_add_co_ci_u32_e64 v1, null, s1, v1, vcc_lo
	global_store_b128 v[0:1], v[5:8], off
.LBB9_23:
	s_endpgm
	.section	.rodata,"a",@progbits
	.p2align	6, 0x0
	.amdhsa_kernel _ZN9rocsparse31csrmmnn_row_split_shared_kernelILj256ELj8E21rocsparse_complex_numIdEiiS2_S2_S2_EEvNS_24const_host_device_scalarIT1_EES5_bbbT3_S6_llPKT2_PKS6_PKT4_PKT5_llPT6_ll16rocsparse_order_21rocsparse_index_base_
		.amdhsa_group_segment_fixed_size 5120
		.amdhsa_private_segment_fixed_size 0
		.amdhsa_kernarg_size 144
		.amdhsa_user_sgpr_count 2
		.amdhsa_user_sgpr_dispatch_ptr 0
		.amdhsa_user_sgpr_queue_ptr 0
		.amdhsa_user_sgpr_kernarg_segment_ptr 1
		.amdhsa_user_sgpr_dispatch_id 0
		.amdhsa_user_sgpr_private_segment_size 0
		.amdhsa_wavefront_size32 1
		.amdhsa_uses_dynamic_stack 0
		.amdhsa_enable_private_segment 0
		.amdhsa_system_sgpr_workgroup_id_x 1
		.amdhsa_system_sgpr_workgroup_id_y 1
		.amdhsa_system_sgpr_workgroup_id_z 1
		.amdhsa_system_sgpr_workgroup_info 0
		.amdhsa_system_vgpr_workitem_id 0
		.amdhsa_next_free_vgpr 56
		.amdhsa_next_free_sgpr 26
		.amdhsa_reserve_vcc 1
		.amdhsa_float_round_mode_32 0
		.amdhsa_float_round_mode_16_64 0
		.amdhsa_float_denorm_mode_32 3
		.amdhsa_float_denorm_mode_16_64 3
		.amdhsa_fp16_overflow 0
		.amdhsa_workgroup_processor_mode 1
		.amdhsa_memory_ordered 1
		.amdhsa_forward_progress 1
		.amdhsa_inst_pref_size 21
		.amdhsa_round_robin_scheduling 0
		.amdhsa_exception_fp_ieee_invalid_op 0
		.amdhsa_exception_fp_denorm_src 0
		.amdhsa_exception_fp_ieee_div_zero 0
		.amdhsa_exception_fp_ieee_overflow 0
		.amdhsa_exception_fp_ieee_underflow 0
		.amdhsa_exception_fp_ieee_inexact 0
		.amdhsa_exception_int_div_zero 0
	.end_amdhsa_kernel
	.section	.text._ZN9rocsparse31csrmmnn_row_split_shared_kernelILj256ELj8E21rocsparse_complex_numIdEiiS2_S2_S2_EEvNS_24const_host_device_scalarIT1_EES5_bbbT3_S6_llPKT2_PKS6_PKT4_PKT5_llPT6_ll16rocsparse_order_21rocsparse_index_base_,"axG",@progbits,_ZN9rocsparse31csrmmnn_row_split_shared_kernelILj256ELj8E21rocsparse_complex_numIdEiiS2_S2_S2_EEvNS_24const_host_device_scalarIT1_EES5_bbbT3_S6_llPKT2_PKS6_PKT4_PKT5_llPT6_ll16rocsparse_order_21rocsparse_index_base_,comdat
.Lfunc_end9:
	.size	_ZN9rocsparse31csrmmnn_row_split_shared_kernelILj256ELj8E21rocsparse_complex_numIdEiiS2_S2_S2_EEvNS_24const_host_device_scalarIT1_EES5_bbbT3_S6_llPKT2_PKS6_PKT4_PKT5_llPT6_ll16rocsparse_order_21rocsparse_index_base_, .Lfunc_end9-_ZN9rocsparse31csrmmnn_row_split_shared_kernelILj256ELj8E21rocsparse_complex_numIdEiiS2_S2_S2_EEvNS_24const_host_device_scalarIT1_EES5_bbbT3_S6_llPKT2_PKS6_PKT4_PKT5_llPT6_ll16rocsparse_order_21rocsparse_index_base_
                                        ; -- End function
	.set _ZN9rocsparse31csrmmnn_row_split_shared_kernelILj256ELj8E21rocsparse_complex_numIdEiiS2_S2_S2_EEvNS_24const_host_device_scalarIT1_EES5_bbbT3_S6_llPKT2_PKS6_PKT4_PKT5_llPT6_ll16rocsparse_order_21rocsparse_index_base_.num_vgpr, 56
	.set _ZN9rocsparse31csrmmnn_row_split_shared_kernelILj256ELj8E21rocsparse_complex_numIdEiiS2_S2_S2_EEvNS_24const_host_device_scalarIT1_EES5_bbbT3_S6_llPKT2_PKS6_PKT4_PKT5_llPT6_ll16rocsparse_order_21rocsparse_index_base_.num_agpr, 0
	.set _ZN9rocsparse31csrmmnn_row_split_shared_kernelILj256ELj8E21rocsparse_complex_numIdEiiS2_S2_S2_EEvNS_24const_host_device_scalarIT1_EES5_bbbT3_S6_llPKT2_PKS6_PKT4_PKT5_llPT6_ll16rocsparse_order_21rocsparse_index_base_.numbered_sgpr, 26
	.set _ZN9rocsparse31csrmmnn_row_split_shared_kernelILj256ELj8E21rocsparse_complex_numIdEiiS2_S2_S2_EEvNS_24const_host_device_scalarIT1_EES5_bbbT3_S6_llPKT2_PKS6_PKT4_PKT5_llPT6_ll16rocsparse_order_21rocsparse_index_base_.num_named_barrier, 0
	.set _ZN9rocsparse31csrmmnn_row_split_shared_kernelILj256ELj8E21rocsparse_complex_numIdEiiS2_S2_S2_EEvNS_24const_host_device_scalarIT1_EES5_bbbT3_S6_llPKT2_PKS6_PKT4_PKT5_llPT6_ll16rocsparse_order_21rocsparse_index_base_.private_seg_size, 0
	.set _ZN9rocsparse31csrmmnn_row_split_shared_kernelILj256ELj8E21rocsparse_complex_numIdEiiS2_S2_S2_EEvNS_24const_host_device_scalarIT1_EES5_bbbT3_S6_llPKT2_PKS6_PKT4_PKT5_llPT6_ll16rocsparse_order_21rocsparse_index_base_.uses_vcc, 1
	.set _ZN9rocsparse31csrmmnn_row_split_shared_kernelILj256ELj8E21rocsparse_complex_numIdEiiS2_S2_S2_EEvNS_24const_host_device_scalarIT1_EES5_bbbT3_S6_llPKT2_PKS6_PKT4_PKT5_llPT6_ll16rocsparse_order_21rocsparse_index_base_.uses_flat_scratch, 0
	.set _ZN9rocsparse31csrmmnn_row_split_shared_kernelILj256ELj8E21rocsparse_complex_numIdEiiS2_S2_S2_EEvNS_24const_host_device_scalarIT1_EES5_bbbT3_S6_llPKT2_PKS6_PKT4_PKT5_llPT6_ll16rocsparse_order_21rocsparse_index_base_.has_dyn_sized_stack, 0
	.set _ZN9rocsparse31csrmmnn_row_split_shared_kernelILj256ELj8E21rocsparse_complex_numIdEiiS2_S2_S2_EEvNS_24const_host_device_scalarIT1_EES5_bbbT3_S6_llPKT2_PKS6_PKT4_PKT5_llPT6_ll16rocsparse_order_21rocsparse_index_base_.has_recursion, 0
	.set _ZN9rocsparse31csrmmnn_row_split_shared_kernelILj256ELj8E21rocsparse_complex_numIdEiiS2_S2_S2_EEvNS_24const_host_device_scalarIT1_EES5_bbbT3_S6_llPKT2_PKS6_PKT4_PKT5_llPT6_ll16rocsparse_order_21rocsparse_index_base_.has_indirect_call, 0
	.section	.AMDGPU.csdata,"",@progbits
; Kernel info:
; codeLenInByte = 2616
; TotalNumSgprs: 28
; NumVgprs: 56
; ScratchSize: 0
; MemoryBound: 0
; FloatMode: 240
; IeeeMode: 1
; LDSByteSize: 5120 bytes/workgroup (compile time only)
; SGPRBlocks: 0
; VGPRBlocks: 6
; NumSGPRsForWavesPerEU: 28
; NumVGPRsForWavesPerEU: 56
; Occupancy: 16
; WaveLimiterHint : 1
; COMPUTE_PGM_RSRC2:SCRATCH_EN: 0
; COMPUTE_PGM_RSRC2:USER_SGPR: 2
; COMPUTE_PGM_RSRC2:TRAP_HANDLER: 0
; COMPUTE_PGM_RSRC2:TGID_X_EN: 1
; COMPUTE_PGM_RSRC2:TGID_Y_EN: 1
; COMPUTE_PGM_RSRC2:TGID_Z_EN: 1
; COMPUTE_PGM_RSRC2:TIDIG_COMP_CNT: 0
	.section	.text._ZN9rocsparse31csrmmnn_row_split_shared_kernelILj256ELj8E21rocsparse_complex_numIdEliS2_S2_S2_EEvNS_24const_host_device_scalarIT1_EES5_bbbT3_S6_llPKT2_PKS6_PKT4_PKT5_llPT6_ll16rocsparse_order_21rocsparse_index_base_,"axG",@progbits,_ZN9rocsparse31csrmmnn_row_split_shared_kernelILj256ELj8E21rocsparse_complex_numIdEliS2_S2_S2_EEvNS_24const_host_device_scalarIT1_EES5_bbbT3_S6_llPKT2_PKS6_PKT4_PKT5_llPT6_ll16rocsparse_order_21rocsparse_index_base_,comdat
	.protected	_ZN9rocsparse31csrmmnn_row_split_shared_kernelILj256ELj8E21rocsparse_complex_numIdEliS2_S2_S2_EEvNS_24const_host_device_scalarIT1_EES5_bbbT3_S6_llPKT2_PKS6_PKT4_PKT5_llPT6_ll16rocsparse_order_21rocsparse_index_base_ ; -- Begin function _ZN9rocsparse31csrmmnn_row_split_shared_kernelILj256ELj8E21rocsparse_complex_numIdEliS2_S2_S2_EEvNS_24const_host_device_scalarIT1_EES5_bbbT3_S6_llPKT2_PKS6_PKT4_PKT5_llPT6_ll16rocsparse_order_21rocsparse_index_base_
	.globl	_ZN9rocsparse31csrmmnn_row_split_shared_kernelILj256ELj8E21rocsparse_complex_numIdEliS2_S2_S2_EEvNS_24const_host_device_scalarIT1_EES5_bbbT3_S6_llPKT2_PKS6_PKT4_PKT5_llPT6_ll16rocsparse_order_21rocsparse_index_base_
	.p2align	8
	.type	_ZN9rocsparse31csrmmnn_row_split_shared_kernelILj256ELj8E21rocsparse_complex_numIdEliS2_S2_S2_EEvNS_24const_host_device_scalarIT1_EES5_bbbT3_S6_llPKT2_PKS6_PKT4_PKT5_llPT6_ll16rocsparse_order_21rocsparse_index_base_,@function
_ZN9rocsparse31csrmmnn_row_split_shared_kernelILj256ELj8E21rocsparse_complex_numIdEliS2_S2_S2_EEvNS_24const_host_device_scalarIT1_EES5_bbbT3_S6_llPKT2_PKS6_PKT4_PKT5_llPT6_ll16rocsparse_order_21rocsparse_index_base_: ; @_ZN9rocsparse31csrmmnn_row_split_shared_kernelILj256ELj8E21rocsparse_complex_numIdEliS2_S2_S2_EEvNS_24const_host_device_scalarIT1_EES5_bbbT3_S6_llPKT2_PKS6_PKT4_PKT5_llPT6_ll16rocsparse_order_21rocsparse_index_base_
; %bb.0:
	s_clause 0x2
	s_load_b32 s3, s[0:1], 0x20
	s_load_b64 s[4:5], s[0:1], 0x0
	s_load_b64 s[6:7], s[0:1], 0x10
	s_wait_kmcnt 0x0
	s_bitcmp1_b32 s3, 0
	s_cselect_b32 s2, s0, s4
	s_cselect_b32 s4, s1, s5
	s_delay_alu instid0(SALU_CYCLE_1)
	v_dual_mov_b32 v1, s2 :: v_dual_mov_b32 v2, s4
	s_add_nc_u64 s[4:5], s[0:1], 16
	s_wait_alu 0xfffe
	s_cselect_b32 s2, s4, s6
	s_cselect_b32 s4, s5, s7
	flat_load_b128 v[5:8], v[1:2]
	s_wait_alu 0xfffe
	v_dual_mov_b32 v1, s2 :: v_dual_mov_b32 v2, s4
	flat_load_b128 v[1:4], v[1:2]
	s_wait_loadcnt_dscnt 0x101
	v_cmp_eq_f64_e32 vcc_lo, 0, v[5:6]
	v_cmp_eq_f64_e64 s2, 0, v[7:8]
	s_and_b32 s5, vcc_lo, s2
	s_mov_b32 s2, -1
	s_wait_alu 0xfffe
	s_and_saveexec_b32 s4, s5
	s_cbranch_execz .LBB10_2
; %bb.1:
	s_wait_loadcnt_dscnt 0x0
	v_cmp_neq_f64_e32 vcc_lo, 1.0, v[1:2]
	v_cmp_neq_f64_e64 s2, 0, v[3:4]
	s_or_b32 s2, vcc_lo, s2
	s_wait_alu 0xfffe
	s_or_not1_b32 s2, s2, exec_lo
.LBB10_2:
	s_wait_alu 0xfffe
	s_or_b32 exec_lo, exec_lo, s4
	s_and_saveexec_b32 s4, s2
	s_cbranch_execz .LBB10_23
; %bb.3:
	s_load_b96 s[20:22], s[0:1], 0x20
	v_lshl_or_b32 v9, ttmp9, 8, v0
	s_delay_alu instid0(VALU_DEP_1) | instskip(SKIP_1) | instid1(VALU_DEP_1)
	v_lshrrev_b32_e32 v13, 3, v9
	s_wait_kmcnt 0x0
	v_cmp_gt_i32_e32 vcc_lo, s21, v13
	s_and_b32 exec_lo, exec_lo, vcc_lo
	s_cbranch_execz .LBB10_23
; %bb.4:
	s_load_b512 s[4:19], s[0:1], 0x30
	s_mov_b32 s25, 0
	s_lshr_b32 s24, ttmp7, 16
	v_lshlrev_b32_e32 v9, 3, v13
	v_dual_mov_b32 v23, 0 :: v_dual_and_b32 v28, 7, v0
	v_mov_b32_e32 v24, 0
	s_and_b32 s2, ttmp7, 0xffff
	v_dual_mov_b32 v25, 0 :: v_dual_mov_b32 v14, 0
	s_wait_alu 0xfffe
	v_lshl_or_b32 v27, s2, 3, v28
	v_mov_b32_e32 v26, 0
	s_mov_b32 s21, exec_lo
	s_wait_kmcnt 0x0
	s_mul_u64 s[4:5], s[4:5], s[24:25]
	s_wait_alu 0xfffe
	s_lshl_b64 s[4:5], s[4:5], 3
	s_wait_alu 0xfffe
	s_add_nc_u64 s[4:5], s[8:9], s[4:5]
	s_load_b64 s[8:9], s[0:1], 0x88
	global_load_b128 v[9:12], v9, s[4:5]
	s_wait_loadcnt 0x0
	v_cmpx_lt_i64_e64 v[9:10], v[11:12]
	s_cbranch_execz .LBB10_12
; %bb.5:
	s_wait_kmcnt 0x0
	v_sub_co_u32 v15, vcc_lo, v11, s9
	v_mad_co_u64_u32 v[19:20], null, s16, v27, 0
	v_subrev_co_ci_u32_e64 v16, null, 0, v12, vcc_lo
	v_mad_co_u64_u32 v[11:12], null, s6, s24, v[9:10]
	s_bitcmp1_b32 s3, 8
	v_lshrrev_b32_e32 v22, 3, v0
	v_mov_b32_e32 v0, v20
	v_sub_co_u32 v17, s3, v9, s9
	s_wait_alu 0xf1ff
	v_subrev_co_ci_u32_e64 v18, null, 0, v10, s3
	v_mov_b32_e32 v9, v12
	s_wait_dscnt 0x0
	v_mad_co_u64_u32 v[20:21], null, s17, v27, v[0:1]
	v_add_co_u32 v11, s4, v11, v28
	s_delay_alu instid0(VALU_DEP_3)
	v_mad_co_u64_u32 v[9:10], null, s7, s24, v[9:10]
	s_cselect_b32 vcc_lo, -1, 0
	s_bitcmp1_b32 s20, 16
	s_mul_u64 s[6:7], s[18:19], s[24:25]
	s_cselect_b32 s2, -1, 0
	v_lshl_or_b32 v0, v22, 5, 0x1000
	v_lshlrev_b32_e32 v29, 7, v22
	v_add_co_ci_u32_e64 v12, null, 0, v9, s4
	v_lshlrev_b64_e32 v[9:10], 4, v[19:20]
	v_sub_co_u32 v11, s4, v11, s9
	s_wait_alu 0xf1ff
	s_delay_alu instid0(VALU_DEP_3) | instskip(SKIP_1) | instid1(VALU_DEP_4)
	v_subrev_co_ci_u32_e64 v12, null, 0, v12, s4
	v_mov_b32_e32 v23, 0
	v_add_co_u32 v19, s4, s14, v9
	s_wait_alu 0xf1ff
	v_add_co_ci_u32_e64 v20, null, s15, v10, s4
	v_lshlrev_b64_e32 v[9:10], 2, v[11:12]
	s_wait_alu 0xfffe
	s_lshl_b64 s[4:5], s[6:7], 4
	v_lshlrev_b64_e32 v[11:12], 4, v[11:12]
	s_wait_alu 0xfffe
	v_add_co_u32 v32, s4, v19, s4
	s_wait_alu 0xf1ff
	v_add_co_ci_u32_e64 v33, null, s5, v20, s4
	v_add_co_u32 v19, s4, s10, v9
	s_wait_alu 0xf1ff
	v_add_co_ci_u32_e64 v20, null, s11, v10, s4
	;; [unrolled: 3-line block ×3, first 2 shown]
	v_mov_b32_e32 v25, 0
	s_delay_alu instid0(VALU_DEP_3)
	v_add_co_u32 v21, s4, v9, 8
	v_lshl_or_b32 v30, v28, 2, v0
	v_cmp_gt_i32_e64 s3, s22, v27
	v_mov_b32_e32 v24, 0
	v_lshl_or_b32 v31, v28, 4, v29
	v_mov_b32_e32 v26, 0
	s_wait_alu 0xf1ff
	v_add_co_ci_u32_e64 v22, null, 0, v10, s4
	s_mov_b32 s6, s25
	s_branch .LBB10_7
.LBB10_6:                               ;   in Loop: Header=BB10_7 Depth=1
	s_wait_alu 0xfffe
	s_or_b32 exec_lo, exec_lo, s5
	v_add_co_u32 v17, s4, v17, 8
	s_wait_alu 0xf1ff
	v_add_co_ci_u32_e64 v18, null, 0, v18, s4
	v_add_co_u32 v19, s4, v19, 32
	s_wait_alu 0xf1ff
	v_add_co_ci_u32_e64 v20, null, 0, v20, s4
	s_delay_alu instid0(VALU_DEP_3)
	v_cmp_ge_i64_e64 s4, v[17:18], v[15:16]
	v_add_co_u32 v21, s5, 0x80, v21
	s_wait_alu 0xf1ff
	v_add_co_ci_u32_e64 v22, null, 0, v22, s5
	s_or_b32 s6, s4, s6
	s_wait_alu 0xfffe
	s_and_not1_b32 exec_lo, exec_lo, s6
	s_cbranch_execz .LBB10_11
.LBB10_7:                               ; =>This Inner Loop Header: Depth=1
	v_add_co_u32 v11, s4, v28, v17
	s_wait_alu 0xf1ff
	v_add_co_ci_u32_e64 v12, null, 0, v18, s4
	v_mov_b32_e32 v9, 0
	v_mov_b32_e32 v10, 0
	;; [unrolled: 1-line block ×3, first 2 shown]
	s_delay_alu instid0(VALU_DEP_4)
	v_cmp_lt_i64_e64 s4, v[11:12], v[15:16]
	v_mov_b32_e32 v11, 0
	v_mov_b32_e32 v12, 0
	s_barrier_signal -1
	s_barrier_wait -1
	global_inv scope:SCOPE_SE
	s_and_saveexec_b32 s5, s4
	s_cbranch_execz .LBB10_9
; %bb.8:                                ;   in Loop: Header=BB10_7 Depth=1
	global_load_b128 v[9:12], v[21:22], off offset:-8
	global_load_b32 v34, v[19:20], off
	s_wait_loadcnt 0x1
	v_xor_b32_e32 v35, 0x80000000, v12
	s_wait_loadcnt 0x0
	v_subrev_nc_u32_e32 v34, s9, v34
	s_delay_alu instid0(VALU_DEP_2)
	v_cndmask_b32_e32 v12, v12, v35, vcc_lo
.LBB10_9:                               ;   in Loop: Header=BB10_7 Depth=1
	s_wait_alu 0xfffe
	s_or_b32 exec_lo, exec_lo, s5
	ds_store_b32 v30, v34
	ds_store_b128 v31, v[9:12]
	s_wait_loadcnt_dscnt 0x0
	s_barrier_signal -1
	s_barrier_wait -1
	global_inv scope:SCOPE_SE
	s_and_saveexec_b32 s5, s3
	s_cbranch_execz .LBB10_6
; %bb.10:                               ;   in Loop: Header=BB10_7 Depth=1
	ds_load_b128 v[9:12], v0
	ds_load_b128 v[34:37], v0 offset:16
	ds_load_b128 v[58:61], v29 offset:16
	s_wait_dscnt 0x2
	v_ashrrev_i32_e32 v39, 31, v9
	v_mov_b32_e32 v38, v9
	v_ashrrev_i32_e32 v43, 31, v10
	v_mov_b32_e32 v42, v10
	s_wait_dscnt 0x1
	v_ashrrev_i32_e32 v51, 31, v34
	v_mov_b32_e32 v50, v34
	v_lshlrev_b64_e32 v[38:39], 4, v[38:39]
	v_lshlrev_b64_e32 v[9:10], 4, v[42:43]
	s_delay_alu instid0(VALU_DEP_3) | instskip(NEXT) | instid1(VALU_DEP_3)
	v_lshlrev_b64_e32 v[50:51], 4, v[50:51]
	v_add_co_u32 v38, s4, v32, v38
	s_wait_alu 0xf1ff
	s_delay_alu instid0(VALU_DEP_4) | instskip(NEXT) | instid1(VALU_DEP_4)
	v_add_co_ci_u32_e64 v39, null, v33, v39, s4
	v_add_co_u32 v9, s4, v32, v9
	s_wait_alu 0xf1ff
	v_add_co_ci_u32_e64 v10, null, v33, v10, s4
	s_clause 0x1
	global_load_b128 v[38:41], v[38:39], off
	global_load_b128 v[42:45], v[9:10], off
	v_ashrrev_i32_e32 v10, 31, v11
	v_mov_b32_e32 v9, v11
	s_delay_alu instid0(VALU_DEP_1) | instskip(NEXT) | instid1(VALU_DEP_1)
	v_lshlrev_b64_e32 v[9:10], 4, v[9:10]
	v_add_co_u32 v9, s4, v32, v9
	s_wait_alu 0xf1ff
	s_delay_alu instid0(VALU_DEP_2) | instskip(SKIP_3) | instid1(VALU_DEP_1)
	v_add_co_ci_u32_e64 v10, null, v33, v10, s4
	global_load_b128 v[46:49], v[9:10], off
	v_ashrrev_i32_e32 v10, 31, v12
	v_mov_b32_e32 v9, v12
	v_lshlrev_b64_e32 v[9:10], 4, v[9:10]
	s_delay_alu instid0(VALU_DEP_1) | instskip(SKIP_1) | instid1(VALU_DEP_2)
	v_add_co_u32 v9, s4, v32, v9
	s_wait_alu 0xf1ff
	v_add_co_ci_u32_e64 v10, null, v33, v10, s4
	v_add_co_u32 v54, s4, v32, v50
	s_wait_alu 0xf1ff
	v_add_co_ci_u32_e64 v55, null, v33, v51, s4
	global_load_b128 v[9:12], v[9:10], off
	ds_load_b128 v[50:53], v29
	global_load_b128 v[54:57], v[54:55], off
	s_wait_loadcnt_dscnt 0x400
	v_fma_f64 v[25:26], v[50:51], v[38:39], v[25:26]
	v_fma_f64 v[23:24], v[52:53], v[38:39], v[23:24]
	v_xor_b32_e32 v34, 0x80000000, v41
	s_delay_alu instid0(VALU_DEP_1) | instskip(NEXT) | instid1(VALU_DEP_1)
	v_cndmask_b32_e64 v41, v41, v34, s2
	v_fma_f64 v[38:39], -v[52:53], v[40:41], v[25:26]
	s_delay_alu instid0(VALU_DEP_4) | instskip(SKIP_4) | instid1(VALU_DEP_1)
	v_fma_f64 v[40:41], v[50:51], v[40:41], v[23:24]
	v_ashrrev_i32_e32 v24, 31, v35
	v_mov_b32_e32 v23, v35
	ds_load_b128 v[50:53], v29 offset:48
	v_lshlrev_b64_e32 v[23:24], 4, v[23:24]
	v_add_co_u32 v23, s4, v32, v23
	s_wait_alu 0xf1ff
	s_delay_alu instid0(VALU_DEP_2)
	v_add_co_ci_u32_e64 v24, null, v33, v24, s4
	global_load_b128 v[23:26], v[23:24], off
	s_wait_loadcnt 0x4
	v_fma_f64 v[34:35], v[58:59], v[42:43], v[38:39]
	v_fma_f64 v[38:39], v[60:61], v[42:43], v[40:41]
	v_xor_b32_e32 v40, 0x80000000, v45
	s_delay_alu instid0(VALU_DEP_1) | instskip(NEXT) | instid1(VALU_DEP_1)
	v_cndmask_b32_e64 v45, v45, v40, s2
	v_fma_f64 v[34:35], -v[60:61], v[44:45], v[34:35]
	s_delay_alu instid0(VALU_DEP_4) | instskip(SKIP_4) | instid1(VALU_DEP_2)
	v_fma_f64 v[58:59], v[58:59], v[44:45], v[38:39]
	v_ashrrev_i32_e32 v39, 31, v36
	v_mov_b32_e32 v38, v36
	s_wait_loadcnt 0x3
	v_xor_b32_e32 v36, 0x80000000, v49
	v_lshlrev_b64_e32 v[38:39], 4, v[38:39]
	s_delay_alu instid0(VALU_DEP_2) | instskip(NEXT) | instid1(VALU_DEP_2)
	v_cndmask_b32_e64 v49, v49, v36, s2
	v_add_co_u32 v42, s4, v32, v38
	s_wait_alu 0xf1ff
	s_delay_alu instid0(VALU_DEP_3)
	v_add_co_ci_u32_e64 v43, null, v33, v39, s4
	ds_load_b128 v[38:41], v29 offset:32
	global_load_b128 v[42:45], v[42:43], off
	s_wait_dscnt 0x0
	v_fma_f64 v[34:35], v[38:39], v[46:47], v[34:35]
	v_fma_f64 v[46:47], v[40:41], v[46:47], v[58:59]
	s_delay_alu instid0(VALU_DEP_2) | instskip(NEXT) | instid1(VALU_DEP_2)
	v_fma_f64 v[40:41], -v[40:41], v[48:49], v[34:35]
	v_fma_f64 v[38:39], v[38:39], v[48:49], v[46:47]
	v_ashrrev_i32_e32 v35, 31, v37
	v_mov_b32_e32 v34, v37
	s_delay_alu instid0(VALU_DEP_1) | instskip(NEXT) | instid1(VALU_DEP_1)
	v_lshlrev_b64_e32 v[34:35], 4, v[34:35]
	v_add_co_u32 v34, s4, v32, v34
	s_wait_alu 0xf1ff
	s_delay_alu instid0(VALU_DEP_2)
	v_add_co_ci_u32_e64 v35, null, v33, v35, s4
	global_load_b128 v[34:37], v[34:35], off
	s_wait_loadcnt 0x4
	v_fma_f64 v[40:41], v[50:51], v[9:10], v[40:41]
	v_fma_f64 v[9:10], v[52:53], v[9:10], v[38:39]
	v_xor_b32_e32 v38, 0x80000000, v12
	s_delay_alu instid0(VALU_DEP_1) | instskip(NEXT) | instid1(VALU_DEP_1)
	v_cndmask_b32_e64 v12, v12, v38, s2
	v_fma_f64 v[46:47], -v[52:53], v[11:12], v[40:41]
	s_delay_alu instid0(VALU_DEP_4) | instskip(SKIP_4) | instid1(VALU_DEP_1)
	v_fma_f64 v[48:49], v[50:51], v[11:12], v[9:10]
	ds_load_b128 v[9:12], v29 offset:64
	ds_load_b128 v[38:41], v29 offset:80
	s_wait_loadcnt 0x3
	v_xor_b32_e32 v50, 0x80000000, v57
	v_cndmask_b32_e64 v57, v57, v50, s2
	s_wait_dscnt 0x1
	v_fma_f64 v[46:47], v[9:10], v[54:55], v[46:47]
	v_fma_f64 v[48:49], v[11:12], v[54:55], v[48:49]
	s_delay_alu instid0(VALU_DEP_2) | instskip(NEXT) | instid1(VALU_DEP_2)
	v_fma_f64 v[11:12], -v[11:12], v[56:57], v[46:47]
	v_fma_f64 v[9:10], v[9:10], v[56:57], v[48:49]
	s_wait_loadcnt_dscnt 0x200
	s_delay_alu instid0(VALU_DEP_2) | instskip(NEXT) | instid1(VALU_DEP_2)
	v_fma_f64 v[11:12], v[38:39], v[23:24], v[11:12]
	v_fma_f64 v[9:10], v[40:41], v[23:24], v[9:10]
	v_xor_b32_e32 v23, 0x80000000, v26
	s_delay_alu instid0(VALU_DEP_1) | instskip(NEXT) | instid1(VALU_DEP_1)
	v_cndmask_b32_e64 v26, v26, v23, s2
	v_fma_f64 v[40:41], -v[40:41], v[25:26], v[11:12]
	s_delay_alu instid0(VALU_DEP_4)
	v_fma_f64 v[38:39], v[38:39], v[25:26], v[9:10]
	ds_load_b128 v[9:12], v29 offset:96
	ds_load_b128 v[23:26], v29 offset:112
	s_wait_loadcnt_dscnt 0x101
	v_fma_f64 v[40:41], v[9:10], v[42:43], v[40:41]
	v_fma_f64 v[38:39], v[11:12], v[42:43], v[38:39]
	v_xor_b32_e32 v42, 0x80000000, v45
	s_delay_alu instid0(VALU_DEP_1) | instskip(NEXT) | instid1(VALU_DEP_1)
	v_cndmask_b32_e64 v45, v45, v42, s2
	v_fma_f64 v[11:12], -v[11:12], v[44:45], v[40:41]
	s_delay_alu instid0(VALU_DEP_4) | instskip(SKIP_1) | instid1(VALU_DEP_2)
	v_fma_f64 v[9:10], v[9:10], v[44:45], v[38:39]
	s_wait_loadcnt_dscnt 0x0
	v_fma_f64 v[11:12], v[23:24], v[34:35], v[11:12]
	s_delay_alu instid0(VALU_DEP_2) | instskip(SKIP_1) | instid1(VALU_DEP_1)
	v_fma_f64 v[9:10], v[25:26], v[34:35], v[9:10]
	v_xor_b32_e32 v34, 0x80000000, v37
	v_cndmask_b32_e64 v37, v37, v34, s2
	s_delay_alu instid0(VALU_DEP_1) | instskip(NEXT) | instid1(VALU_DEP_4)
	v_fma_f64 v[25:26], -v[25:26], v[36:37], v[11:12]
	v_fma_f64 v[23:24], v[23:24], v[36:37], v[9:10]
	s_branch .LBB10_6
.LBB10_11:
	s_or_b32 exec_lo, exec_lo, s6
.LBB10_12:
	s_delay_alu instid0(SALU_CYCLE_1)
	s_or_b32 exec_lo, exec_lo, s21
	v_cmp_gt_i32_e32 vcc_lo, s22, v27
	s_and_b32 exec_lo, exec_lo, vcc_lo
	s_cbranch_execz .LBB10_23
; %bb.13:
	v_mul_f64_e64 v[9:10], v[23:24], -v[7:8]
	v_mul_f64_e32 v[11:12], v[5:6], v[23:24]
	s_wait_dscnt 0x0
	v_cmp_neq_f64_e32 vcc_lo, 0, v[1:2]
	v_cmp_neq_f64_e64 s2, 0, v[3:4]
	s_clause 0x1
	s_load_b64 s[10:11], s[0:1], 0x80
	s_load_b128 s[4:7], s[0:1], 0x70
	s_wait_kmcnt 0x0
	s_mul_u64 s[0:1], s[10:11], s[24:25]
	v_fma_f64 v[5:6], v[5:6], v[25:26], v[9:10]
	v_fma_f64 v[7:8], v[7:8], v[25:26], v[11:12]
	s_or_b32 s3, vcc_lo, s2
	s_cmp_lg_u32 s8, 1
	s_cselect_b32 s2, -1, 0
	s_wait_alu 0xfffe
	s_and_saveexec_b32 s8, s3
	s_wait_alu 0xfffe
	s_xor_b32 s3, exec_lo, s8
	s_cbranch_execz .LBB10_18
; %bb.14:
	s_and_b32 vcc_lo, exec_lo, s2
	s_mov_b32 s8, -1
	s_wait_alu 0xfffe
	s_cbranch_vccz .LBB10_16
; %bb.15:
	v_mad_co_u64_u32 v[9:10], null, s6, v13, 0
	s_lshl_b64 s[8:9], s[0:1], 4
	v_mov_b32_e32 v0, v10
	s_delay_alu instid0(VALU_DEP_1) | instskip(SKIP_1) | instid1(VALU_DEP_2)
	v_mad_co_u64_u32 v[10:11], null, s7, v13, v[0:1]
	v_lshlrev_b32_e32 v0, 4, v27
	v_lshlrev_b64_e32 v[9:10], 4, v[9:10]
	s_delay_alu instid0(VALU_DEP_1) | instskip(SKIP_1) | instid1(VALU_DEP_2)
	v_add_co_u32 v9, vcc_lo, s4, v9
	s_wait_alu 0xfffd
	v_add_co_ci_u32_e64 v10, null, s5, v10, vcc_lo
	s_delay_alu instid0(VALU_DEP_2) | instskip(SKIP_1) | instid1(VALU_DEP_2)
	v_add_co_u32 v0, vcc_lo, v9, v0
	s_wait_alu 0xfffd
	v_add_co_ci_u32_e64 v9, null, 0, v10, vcc_lo
	s_wait_alu 0xfffe
	s_delay_alu instid0(VALU_DEP_2) | instskip(SKIP_1) | instid1(VALU_DEP_2)
	v_add_co_u32 v15, vcc_lo, v0, s8
	s_wait_alu 0xfffd
	v_add_co_ci_u32_e64 v16, null, s9, v9, vcc_lo
	s_mov_b32 s8, 0
	global_load_b128 v[9:12], v[15:16], off
	s_wait_loadcnt 0x0
	v_fma_f64 v[17:18], v[1:2], v[9:10], v[5:6]
	v_fma_f64 v[19:20], v[3:4], v[9:10], v[7:8]
	s_delay_alu instid0(VALU_DEP_2) | instskip(NEXT) | instid1(VALU_DEP_2)
	v_fma_f64 v[9:10], -v[3:4], v[11:12], v[17:18]
	v_fma_f64 v[11:12], v[1:2], v[11:12], v[19:20]
	global_store_b128 v[15:16], v[9:12], off
.LBB10_16:
	s_wait_alu 0xfffe
	s_and_not1_b32 vcc_lo, exec_lo, s8
	s_wait_alu 0xfffe
	s_cbranch_vccnz .LBB10_18
; %bb.17:
	v_mad_co_u64_u32 v[9:10], null, s6, v27, 0
	s_lshl_b64 s[8:9], s[0:1], 4
	v_mov_b32_e32 v0, v10
	s_delay_alu instid0(VALU_DEP_1) | instskip(SKIP_1) | instid1(VALU_DEP_2)
	v_mad_co_u64_u32 v[10:11], null, s7, v27, v[0:1]
	v_lshlrev_b64_e32 v[11:12], 4, v[13:14]
                                        ; implicit-def: $vgpr27
	v_lshlrev_b64_e32 v[9:10], 4, v[9:10]
	s_delay_alu instid0(VALU_DEP_1) | instskip(SKIP_1) | instid1(VALU_DEP_2)
	v_add_co_u32 v0, vcc_lo, s4, v9
	s_wait_alu 0xfffd
	v_add_co_ci_u32_e64 v9, null, s5, v10, vcc_lo
	s_delay_alu instid0(VALU_DEP_2) | instskip(SKIP_1) | instid1(VALU_DEP_2)
	v_add_co_u32 v0, vcc_lo, v0, v11
	s_wait_alu 0xfffd
	v_add_co_ci_u32_e64 v9, null, v9, v12, vcc_lo
	s_wait_alu 0xfffe
	s_delay_alu instid0(VALU_DEP_2) | instskip(SKIP_1) | instid1(VALU_DEP_2)
	v_add_co_u32 v13, vcc_lo, v0, s8
	s_wait_alu 0xfffd
	v_add_co_ci_u32_e64 v14, null, s9, v9, vcc_lo
	global_load_b128 v[9:12], v[13:14], off
	s_wait_loadcnt 0x0
	v_fma_f64 v[5:6], v[1:2], v[9:10], v[5:6]
	v_fma_f64 v[7:8], v[3:4], v[9:10], v[7:8]
	s_delay_alu instid0(VALU_DEP_2) | instskip(NEXT) | instid1(VALU_DEP_2)
	v_fma_f64 v[3:4], -v[3:4], v[11:12], v[5:6]
	v_fma_f64 v[5:6], v[1:2], v[11:12], v[7:8]
	global_store_b128 v[13:14], v[3:6], off
                                        ; implicit-def: $vgpr13_vgpr14
                                        ; implicit-def: $vgpr5_vgpr6
.LBB10_18:
	s_wait_alu 0xfffe
	s_and_not1_saveexec_b32 s3, s3
	s_cbranch_execz .LBB10_23
; %bb.19:
	s_and_b32 vcc_lo, exec_lo, s2
	s_mov_b32 s2, -1
	s_wait_alu 0xfffe
	s_cbranch_vccz .LBB10_21
; %bb.20:
	v_mad_co_u64_u32 v[0:1], null, s6, v13, 0
	s_lshl_b64 s[2:3], s[0:1], 4
	v_mad_co_u64_u32 v[1:2], null, s7, v13, v[1:2]
	v_lshlrev_b32_e32 v2, 4, v27
	s_delay_alu instid0(VALU_DEP_2) | instskip(NEXT) | instid1(VALU_DEP_1)
	v_lshlrev_b64_e32 v[0:1], 4, v[0:1]
	v_add_co_u32 v0, vcc_lo, s4, v0
	s_wait_alu 0xfffd
	s_delay_alu instid0(VALU_DEP_2) | instskip(NEXT) | instid1(VALU_DEP_2)
	v_add_co_ci_u32_e64 v1, null, s5, v1, vcc_lo
	v_add_co_u32 v0, vcc_lo, v0, v2
	s_wait_alu 0xfffd
	s_delay_alu instid0(VALU_DEP_2) | instskip(SKIP_1) | instid1(VALU_DEP_2)
	v_add_co_ci_u32_e64 v1, null, 0, v1, vcc_lo
	s_wait_alu 0xfffe
	v_add_co_u32 v0, vcc_lo, v0, s2
	s_wait_alu 0xfffd
	s_delay_alu instid0(VALU_DEP_2)
	v_add_co_ci_u32_e64 v1, null, s3, v1, vcc_lo
	s_mov_b32 s2, 0
	global_store_b128 v[0:1], v[5:8], off
.LBB10_21:
	s_wait_alu 0xfffe
	s_and_not1_b32 vcc_lo, exec_lo, s2
	s_wait_alu 0xfffe
	s_cbranch_vccnz .LBB10_23
; %bb.22:
	v_mad_co_u64_u32 v[0:1], null, s6, v27, 0
	s_lshl_b64 s[0:1], s[0:1], 4
	v_mad_co_u64_u32 v[1:2], null, s7, v27, v[1:2]
	v_lshlrev_b64_e32 v[2:3], 4, v[13:14]
	s_delay_alu instid0(VALU_DEP_2) | instskip(NEXT) | instid1(VALU_DEP_1)
	v_lshlrev_b64_e32 v[0:1], 4, v[0:1]
	v_add_co_u32 v0, vcc_lo, s4, v0
	s_wait_alu 0xfffd
	s_delay_alu instid0(VALU_DEP_2) | instskip(NEXT) | instid1(VALU_DEP_2)
	v_add_co_ci_u32_e64 v1, null, s5, v1, vcc_lo
	v_add_co_u32 v0, vcc_lo, v0, v2
	s_wait_alu 0xfffd
	s_delay_alu instid0(VALU_DEP_2) | instskip(SKIP_1) | instid1(VALU_DEP_2)
	v_add_co_ci_u32_e64 v1, null, v1, v3, vcc_lo
	s_wait_alu 0xfffe
	v_add_co_u32 v0, vcc_lo, v0, s0
	s_wait_alu 0xfffd
	s_delay_alu instid0(VALU_DEP_2)
	v_add_co_ci_u32_e64 v1, null, s1, v1, vcc_lo
	global_store_b128 v[0:1], v[5:8], off
.LBB10_23:
	s_endpgm
	.section	.rodata,"a",@progbits
	.p2align	6, 0x0
	.amdhsa_kernel _ZN9rocsparse31csrmmnn_row_split_shared_kernelILj256ELj8E21rocsparse_complex_numIdEliS2_S2_S2_EEvNS_24const_host_device_scalarIT1_EES5_bbbT3_S6_llPKT2_PKS6_PKT4_PKT5_llPT6_ll16rocsparse_order_21rocsparse_index_base_
		.amdhsa_group_segment_fixed_size 5120
		.amdhsa_private_segment_fixed_size 0
		.amdhsa_kernarg_size 144
		.amdhsa_user_sgpr_count 2
		.amdhsa_user_sgpr_dispatch_ptr 0
		.amdhsa_user_sgpr_queue_ptr 0
		.amdhsa_user_sgpr_kernarg_segment_ptr 1
		.amdhsa_user_sgpr_dispatch_id 0
		.amdhsa_user_sgpr_private_segment_size 0
		.amdhsa_wavefront_size32 1
		.amdhsa_uses_dynamic_stack 0
		.amdhsa_enable_private_segment 0
		.amdhsa_system_sgpr_workgroup_id_x 1
		.amdhsa_system_sgpr_workgroup_id_y 1
		.amdhsa_system_sgpr_workgroup_id_z 1
		.amdhsa_system_sgpr_workgroup_info 0
		.amdhsa_system_vgpr_workitem_id 0
		.amdhsa_next_free_vgpr 62
		.amdhsa_next_free_sgpr 26
		.amdhsa_reserve_vcc 1
		.amdhsa_float_round_mode_32 0
		.amdhsa_float_round_mode_16_64 0
		.amdhsa_float_denorm_mode_32 3
		.amdhsa_float_denorm_mode_16_64 3
		.amdhsa_fp16_overflow 0
		.amdhsa_workgroup_processor_mode 1
		.amdhsa_memory_ordered 1
		.amdhsa_forward_progress 1
		.amdhsa_inst_pref_size 22
		.amdhsa_round_robin_scheduling 0
		.amdhsa_exception_fp_ieee_invalid_op 0
		.amdhsa_exception_fp_denorm_src 0
		.amdhsa_exception_fp_ieee_div_zero 0
		.amdhsa_exception_fp_ieee_overflow 0
		.amdhsa_exception_fp_ieee_underflow 0
		.amdhsa_exception_fp_ieee_inexact 0
		.amdhsa_exception_int_div_zero 0
	.end_amdhsa_kernel
	.section	.text._ZN9rocsparse31csrmmnn_row_split_shared_kernelILj256ELj8E21rocsparse_complex_numIdEliS2_S2_S2_EEvNS_24const_host_device_scalarIT1_EES5_bbbT3_S6_llPKT2_PKS6_PKT4_PKT5_llPT6_ll16rocsparse_order_21rocsparse_index_base_,"axG",@progbits,_ZN9rocsparse31csrmmnn_row_split_shared_kernelILj256ELj8E21rocsparse_complex_numIdEliS2_S2_S2_EEvNS_24const_host_device_scalarIT1_EES5_bbbT3_S6_llPKT2_PKS6_PKT4_PKT5_llPT6_ll16rocsparse_order_21rocsparse_index_base_,comdat
.Lfunc_end10:
	.size	_ZN9rocsparse31csrmmnn_row_split_shared_kernelILj256ELj8E21rocsparse_complex_numIdEliS2_S2_S2_EEvNS_24const_host_device_scalarIT1_EES5_bbbT3_S6_llPKT2_PKS6_PKT4_PKT5_llPT6_ll16rocsparse_order_21rocsparse_index_base_, .Lfunc_end10-_ZN9rocsparse31csrmmnn_row_split_shared_kernelILj256ELj8E21rocsparse_complex_numIdEliS2_S2_S2_EEvNS_24const_host_device_scalarIT1_EES5_bbbT3_S6_llPKT2_PKS6_PKT4_PKT5_llPT6_ll16rocsparse_order_21rocsparse_index_base_
                                        ; -- End function
	.set _ZN9rocsparse31csrmmnn_row_split_shared_kernelILj256ELj8E21rocsparse_complex_numIdEliS2_S2_S2_EEvNS_24const_host_device_scalarIT1_EES5_bbbT3_S6_llPKT2_PKS6_PKT4_PKT5_llPT6_ll16rocsparse_order_21rocsparse_index_base_.num_vgpr, 62
	.set _ZN9rocsparse31csrmmnn_row_split_shared_kernelILj256ELj8E21rocsparse_complex_numIdEliS2_S2_S2_EEvNS_24const_host_device_scalarIT1_EES5_bbbT3_S6_llPKT2_PKS6_PKT4_PKT5_llPT6_ll16rocsparse_order_21rocsparse_index_base_.num_agpr, 0
	.set _ZN9rocsparse31csrmmnn_row_split_shared_kernelILj256ELj8E21rocsparse_complex_numIdEliS2_S2_S2_EEvNS_24const_host_device_scalarIT1_EES5_bbbT3_S6_llPKT2_PKS6_PKT4_PKT5_llPT6_ll16rocsparse_order_21rocsparse_index_base_.numbered_sgpr, 26
	.set _ZN9rocsparse31csrmmnn_row_split_shared_kernelILj256ELj8E21rocsparse_complex_numIdEliS2_S2_S2_EEvNS_24const_host_device_scalarIT1_EES5_bbbT3_S6_llPKT2_PKS6_PKT4_PKT5_llPT6_ll16rocsparse_order_21rocsparse_index_base_.num_named_barrier, 0
	.set _ZN9rocsparse31csrmmnn_row_split_shared_kernelILj256ELj8E21rocsparse_complex_numIdEliS2_S2_S2_EEvNS_24const_host_device_scalarIT1_EES5_bbbT3_S6_llPKT2_PKS6_PKT4_PKT5_llPT6_ll16rocsparse_order_21rocsparse_index_base_.private_seg_size, 0
	.set _ZN9rocsparse31csrmmnn_row_split_shared_kernelILj256ELj8E21rocsparse_complex_numIdEliS2_S2_S2_EEvNS_24const_host_device_scalarIT1_EES5_bbbT3_S6_llPKT2_PKS6_PKT4_PKT5_llPT6_ll16rocsparse_order_21rocsparse_index_base_.uses_vcc, 1
	.set _ZN9rocsparse31csrmmnn_row_split_shared_kernelILj256ELj8E21rocsparse_complex_numIdEliS2_S2_S2_EEvNS_24const_host_device_scalarIT1_EES5_bbbT3_S6_llPKT2_PKS6_PKT4_PKT5_llPT6_ll16rocsparse_order_21rocsparse_index_base_.uses_flat_scratch, 0
	.set _ZN9rocsparse31csrmmnn_row_split_shared_kernelILj256ELj8E21rocsparse_complex_numIdEliS2_S2_S2_EEvNS_24const_host_device_scalarIT1_EES5_bbbT3_S6_llPKT2_PKS6_PKT4_PKT5_llPT6_ll16rocsparse_order_21rocsparse_index_base_.has_dyn_sized_stack, 0
	.set _ZN9rocsparse31csrmmnn_row_split_shared_kernelILj256ELj8E21rocsparse_complex_numIdEliS2_S2_S2_EEvNS_24const_host_device_scalarIT1_EES5_bbbT3_S6_llPKT2_PKS6_PKT4_PKT5_llPT6_ll16rocsparse_order_21rocsparse_index_base_.has_recursion, 0
	.set _ZN9rocsparse31csrmmnn_row_split_shared_kernelILj256ELj8E21rocsparse_complex_numIdEliS2_S2_S2_EEvNS_24const_host_device_scalarIT1_EES5_bbbT3_S6_llPKT2_PKS6_PKT4_PKT5_llPT6_ll16rocsparse_order_21rocsparse_index_base_.has_indirect_call, 0
	.section	.AMDGPU.csdata,"",@progbits
; Kernel info:
; codeLenInByte = 2768
; TotalNumSgprs: 28
; NumVgprs: 62
; ScratchSize: 0
; MemoryBound: 1
; FloatMode: 240
; IeeeMode: 1
; LDSByteSize: 5120 bytes/workgroup (compile time only)
; SGPRBlocks: 0
; VGPRBlocks: 7
; NumSGPRsForWavesPerEU: 28
; NumVGPRsForWavesPerEU: 62
; Occupancy: 16
; WaveLimiterHint : 1
; COMPUTE_PGM_RSRC2:SCRATCH_EN: 0
; COMPUTE_PGM_RSRC2:USER_SGPR: 2
; COMPUTE_PGM_RSRC2:TRAP_HANDLER: 0
; COMPUTE_PGM_RSRC2:TGID_X_EN: 1
; COMPUTE_PGM_RSRC2:TGID_Y_EN: 1
; COMPUTE_PGM_RSRC2:TGID_Z_EN: 1
; COMPUTE_PGM_RSRC2:TIDIG_COMP_CNT: 0
	.section	.text._ZN9rocsparse31csrmmnn_row_split_shared_kernelILj256ELj8E21rocsparse_complex_numIdEllS2_S2_S2_EEvNS_24const_host_device_scalarIT1_EES5_bbbT3_S6_llPKT2_PKS6_PKT4_PKT5_llPT6_ll16rocsparse_order_21rocsparse_index_base_,"axG",@progbits,_ZN9rocsparse31csrmmnn_row_split_shared_kernelILj256ELj8E21rocsparse_complex_numIdEllS2_S2_S2_EEvNS_24const_host_device_scalarIT1_EES5_bbbT3_S6_llPKT2_PKS6_PKT4_PKT5_llPT6_ll16rocsparse_order_21rocsparse_index_base_,comdat
	.protected	_ZN9rocsparse31csrmmnn_row_split_shared_kernelILj256ELj8E21rocsparse_complex_numIdEllS2_S2_S2_EEvNS_24const_host_device_scalarIT1_EES5_bbbT3_S6_llPKT2_PKS6_PKT4_PKT5_llPT6_ll16rocsparse_order_21rocsparse_index_base_ ; -- Begin function _ZN9rocsparse31csrmmnn_row_split_shared_kernelILj256ELj8E21rocsparse_complex_numIdEllS2_S2_S2_EEvNS_24const_host_device_scalarIT1_EES5_bbbT3_S6_llPKT2_PKS6_PKT4_PKT5_llPT6_ll16rocsparse_order_21rocsparse_index_base_
	.globl	_ZN9rocsparse31csrmmnn_row_split_shared_kernelILj256ELj8E21rocsparse_complex_numIdEllS2_S2_S2_EEvNS_24const_host_device_scalarIT1_EES5_bbbT3_S6_llPKT2_PKS6_PKT4_PKT5_llPT6_ll16rocsparse_order_21rocsparse_index_base_
	.p2align	8
	.type	_ZN9rocsparse31csrmmnn_row_split_shared_kernelILj256ELj8E21rocsparse_complex_numIdEllS2_S2_S2_EEvNS_24const_host_device_scalarIT1_EES5_bbbT3_S6_llPKT2_PKS6_PKT4_PKT5_llPT6_ll16rocsparse_order_21rocsparse_index_base_,@function
_ZN9rocsparse31csrmmnn_row_split_shared_kernelILj256ELj8E21rocsparse_complex_numIdEllS2_S2_S2_EEvNS_24const_host_device_scalarIT1_EES5_bbbT3_S6_llPKT2_PKS6_PKT4_PKT5_llPT6_ll16rocsparse_order_21rocsparse_index_base_: ; @_ZN9rocsparse31csrmmnn_row_split_shared_kernelILj256ELj8E21rocsparse_complex_numIdEllS2_S2_S2_EEvNS_24const_host_device_scalarIT1_EES5_bbbT3_S6_llPKT2_PKS6_PKT4_PKT5_llPT6_ll16rocsparse_order_21rocsparse_index_base_
; %bb.0:
	s_clause 0x2
	s_load_b32 s3, s[0:1], 0x20
	s_load_b64 s[4:5], s[0:1], 0x0
	s_load_b64 s[6:7], s[0:1], 0x10
	s_wait_kmcnt 0x0
	s_bitcmp1_b32 s3, 0
	s_cselect_b32 s2, s0, s4
	s_cselect_b32 s4, s1, s5
	s_delay_alu instid0(SALU_CYCLE_1)
	v_dual_mov_b32 v1, s2 :: v_dual_mov_b32 v2, s4
	s_add_nc_u64 s[4:5], s[0:1], 16
	s_wait_alu 0xfffe
	s_cselect_b32 s2, s4, s6
	s_cselect_b32 s4, s5, s7
	flat_load_b128 v[5:8], v[1:2]
	s_wait_alu 0xfffe
	v_dual_mov_b32 v1, s2 :: v_dual_mov_b32 v2, s4
	flat_load_b128 v[1:4], v[1:2]
	s_wait_loadcnt_dscnt 0x101
	v_cmp_eq_f64_e32 vcc_lo, 0, v[5:6]
	v_cmp_eq_f64_e64 s2, 0, v[7:8]
	s_and_b32 s5, vcc_lo, s2
	s_mov_b32 s2, -1
	s_wait_alu 0xfffe
	s_and_saveexec_b32 s4, s5
	s_cbranch_execz .LBB11_2
; %bb.1:
	s_wait_loadcnt_dscnt 0x0
	v_cmp_neq_f64_e32 vcc_lo, 1.0, v[1:2]
	v_cmp_neq_f64_e64 s2, 0, v[3:4]
	s_or_b32 s2, vcc_lo, s2
	s_wait_alu 0xfffe
	s_or_not1_b32 s2, s2, exec_lo
.LBB11_2:
	s_wait_alu 0xfffe
	s_or_b32 exec_lo, exec_lo, s4
	s_and_saveexec_b32 s4, s2
	s_cbranch_execz .LBB11_23
; %bb.3:
	s_load_b512 s[4:19], s[0:1], 0x28
	v_lshl_or_b32 v9, ttmp9, 8, v0
	v_mov_b32_e32 v14, 0
	s_delay_alu instid0(VALU_DEP_2) | instskip(SKIP_1) | instid1(VALU_DEP_1)
	v_lshrrev_b32_e32 v13, 3, v9
	s_wait_kmcnt 0x0
	v_cmp_gt_i64_e32 vcc_lo, s[4:5], v[13:14]
	s_and_b32 exec_lo, exec_lo, vcc_lo
	s_cbranch_execz .LBB11_23
; %bb.4:
	s_mov_b32 s5, 0
	s_lshr_b32 s4, ttmp7, 16
	v_lshlrev_b32_e32 v9, 3, v13
	s_wait_alu 0xfffe
	s_mul_u64 s[8:9], s[8:9], s[4:5]
	v_dual_mov_b32 v25, 0 :: v_dual_mov_b32 v16, v14
	s_lshl_b64 s[8:9], s[8:9], 3
	v_mov_b32_e32 v26, 0
	s_add_nc_u64 s[8:9], s[12:13], s[8:9]
	v_and_b32_e32 v31, 7, v0
	global_load_b128 v[9:12], v9, s[8:9]
	s_clause 0x1
	s_load_b256 s[20:27], s[0:1], 0x68
	s_load_b128 s[28:31], s[0:1], 0x88
	s_and_b32 s0, ttmp7, 0xffff
	v_mov_b32_e32 v27, 0
	v_mov_b32_e32 v28, 0
	s_wait_alu 0xfffe
	v_lshl_or_b32 v15, s0, 3, v31
	s_mov_b32 s8, exec_lo
	s_wait_loadcnt 0x0
	v_cmpx_lt_i64_e64 v[9:10], v[11:12]
	s_cbranch_execz .LBB11_12
; %bb.5:
	s_wait_kmcnt 0x0
	v_sub_co_u32 v17, vcc_lo, v11, s31
	v_mad_co_u64_u32 v[21:22], null, s20, v15, 0
	v_subrev_co_ci_u32_e64 v18, null, 0, v12, vcc_lo
	v_mad_co_u64_u32 v[11:12], null, s10, s4, v[9:10]
	v_lshrrev_b32_e32 v24, 3, v0
	v_sub_co_u32 v19, s1, v9, s31
	v_mov_b32_e32 v0, v22
	s_wait_alu 0xf1ff
	v_subrev_co_ci_u32_e64 v20, null, 0, v10, s1
	v_mov_b32_e32 v9, v12
	v_add_co_u32 v11, s2, v11, v31
	s_wait_dscnt 0x0
	v_mad_co_u64_u32 v[22:23], null, s21, v15, v[0:1]
	s_delay_alu instid0(VALU_DEP_3)
	v_mad_co_u64_u32 v[9:10], null, s11, s4, v[9:10]
	s_bitcmp1_b32 s3, 8
	s_mul_u64 s[10:11], s[22:23], s[4:5]
	s_cselect_b32 vcc_lo, -1, 0
	s_bitcmp1_b32 s3, 16
	v_lshl_or_b32 v0, v24, 6, 0x1000
	s_cselect_b32 s0, -1, 0
	v_add_co_ci_u32_e64 v12, null, 0, v9, s2
	v_lshlrev_b64_e32 v[9:10], 4, v[21:22]
	v_sub_co_u32 v11, s2, v11, s31
	s_wait_alu 0xf1ff
	s_delay_alu instid0(VALU_DEP_3) | instskip(SKIP_1) | instid1(VALU_DEP_4)
	v_subrev_co_ci_u32_e64 v12, null, 0, v12, s2
	v_dual_mov_b32 v25, 0 :: v_dual_lshlrev_b32 v32, 7, v24
	v_add_co_u32 v21, s2, s18, v9
	s_wait_alu 0xf1ff
	v_add_co_ci_u32_e64 v22, null, s19, v10, s2
	v_lshlrev_b64_e32 v[9:10], 3, v[11:12]
	s_wait_alu 0xfffe
	s_lshl_b64 s[2:3], s[10:11], 4
	v_lshlrev_b64_e32 v[11:12], 4, v[11:12]
	s_wait_alu 0xfffe
	v_add_co_u32 v35, s2, v21, s2
	s_wait_alu 0xf1ff
	v_add_co_ci_u32_e64 v36, null, s3, v22, s2
	v_add_co_u32 v21, s2, s14, v9
	s_wait_alu 0xf1ff
	v_add_co_ci_u32_e64 v22, null, s15, v10, s2
	;; [unrolled: 3-line block ×3, first 2 shown]
	v_cmp_gt_i64_e64 s1, s[6:7], v[15:16]
	s_delay_alu instid0(VALU_DEP_3)
	v_add_co_u32 v23, s2, v9, 8
	v_dual_mov_b32 v26, 0 :: v_dual_mov_b32 v27, 0
	v_lshl_or_b32 v33, v31, 3, v0
	v_lshl_or_b32 v34, v31, 4, v32
	v_mov_b32_e32 v28, 0
	s_wait_alu 0xf1ff
	v_add_co_ci_u32_e64 v24, null, 0, v10, s2
	s_mov_b32 s10, s31
	s_mov_b32 s9, s5
	s_branch .LBB11_7
.LBB11_6:                               ;   in Loop: Header=BB11_7 Depth=1
	s_wait_alu 0xfffe
	s_or_b32 exec_lo, exec_lo, s3
	v_add_co_u32 v19, s2, v19, 8
	s_wait_alu 0xf1ff
	v_add_co_ci_u32_e64 v20, null, 0, v20, s2
	v_add_co_u32 v21, s2, v21, 64
	s_wait_alu 0xf1ff
	v_add_co_ci_u32_e64 v22, null, 0, v22, s2
	s_delay_alu instid0(VALU_DEP_3) | instskip(SKIP_4) | instid1(SALU_CYCLE_1)
	v_cmp_ge_i64_e64 s2, v[19:20], v[17:18]
	v_add_co_u32 v23, s3, 0x80, v23
	s_wait_alu 0xf1ff
	v_add_co_ci_u32_e64 v24, null, 0, v24, s3
	s_or_b32 s9, s2, s9
	s_and_not1_b32 exec_lo, exec_lo, s9
	s_cbranch_execz .LBB11_11
.LBB11_7:                               ; =>This Inner Loop Header: Depth=1
	v_add_co_u32 v9, s2, v31, v19
	s_wait_alu 0xf1ff
	v_add_co_ci_u32_e64 v10, null, 0, v20, s2
	v_mov_b32_e32 v29, 0
	v_dual_mov_b32 v30, 0 :: v_dual_mov_b32 v11, 0
	s_delay_alu instid0(VALU_DEP_3)
	v_cmp_lt_i64_e64 s2, v[9:10], v[17:18]
	v_mov_b32_e32 v9, 0
	v_mov_b32_e32 v10, 0
	v_mov_b32_e32 v12, 0
	s_barrier_signal -1
	s_barrier_wait -1
	global_inv scope:SCOPE_SE
	s_and_saveexec_b32 s3, s2
	s_cbranch_execz .LBB11_9
; %bb.8:                                ;   in Loop: Header=BB11_7 Depth=1
	global_load_b128 v[9:12], v[23:24], off offset:-8
	global_load_b64 v[29:30], v[21:22], off
	s_wait_loadcnt 0x1
	v_xor_b32_e32 v37, 0x80000000, v12
	s_wait_loadcnt 0x0
	s_wait_alu 0xfffe
	v_sub_co_u32 v29, s2, v29, s10
	s_wait_alu 0xf1ff
	v_subrev_co_ci_u32_e64 v30, null, 0, v30, s2
	v_cndmask_b32_e32 v12, v12, v37, vcc_lo
.LBB11_9:                               ;   in Loop: Header=BB11_7 Depth=1
	s_wait_alu 0xfffe
	s_or_b32 exec_lo, exec_lo, s3
	ds_store_b64 v33, v[29:30]
	ds_store_b128 v34, v[9:12]
	s_wait_loadcnt_dscnt 0x0
	s_barrier_signal -1
	s_barrier_wait -1
	global_inv scope:SCOPE_SE
	s_and_saveexec_b32 s3, s1
	s_cbranch_execz .LBB11_6
; %bb.10:                               ;   in Loop: Header=BB11_7 Depth=1
	ds_load_b128 v[9:12], v0
	ds_load_b128 v[37:40], v0 offset:16
	s_wait_dscnt 0x1
	v_lshlrev_b64_e32 v[9:10], 4, v[9:10]
	s_wait_dscnt 0x0
	v_lshlrev_b64_e32 v[29:30], 4, v[37:38]
	s_delay_alu instid0(VALU_DEP_2) | instskip(SKIP_1) | instid1(VALU_DEP_3)
	v_add_co_u32 v9, s2, v35, v9
	s_wait_alu 0xf1ff
	v_add_co_ci_u32_e64 v10, null, v36, v10, s2
	global_load_b128 v[41:44], v[9:10], off
	v_lshlrev_b64_e32 v[9:10], 4, v[11:12]
	s_delay_alu instid0(VALU_DEP_1) | instskip(SKIP_1) | instid1(VALU_DEP_2)
	v_add_co_u32 v9, s2, v35, v9
	s_wait_alu 0xf1ff
	v_add_co_ci_u32_e64 v10, null, v36, v10, s2
	v_add_co_u32 v29, s2, v35, v29
	s_wait_alu 0xf1ff
	v_add_co_ci_u32_e64 v30, null, v36, v30, s2
	s_clause 0x1
	global_load_b128 v[9:12], v[9:10], off
	global_load_b128 v[45:48], v[29:30], off
	v_lshlrev_b64_e32 v[29:30], 4, v[39:40]
	s_delay_alu instid0(VALU_DEP_1) | instskip(SKIP_1) | instid1(VALU_DEP_2)
	v_add_co_u32 v29, s2, v35, v29
	s_wait_alu 0xf1ff
	v_add_co_ci_u32_e64 v30, null, v36, v30, s2
	global_load_b128 v[37:40], v[29:30], off
	ds_load_b128 v[49:52], v0 offset:32
	ds_load_b128 v[53:56], v0 offset:48
	ds_load_b128 v[57:60], v32
	ds_load_b128 v[65:68], v32 offset:16
	s_wait_dscnt 0x3
	v_lshlrev_b64_e32 v[29:30], 4, v[49:50]
	s_delay_alu instid0(VALU_DEP_1) | instskip(SKIP_1) | instid1(VALU_DEP_2)
	v_add_co_u32 v29, s2, v35, v29
	s_wait_alu 0xf1ff
	v_add_co_ci_u32_e64 v30, null, v36, v30, s2
	global_load_b128 v[61:64], v[29:30], off
	s_wait_loadcnt_dscnt 0x401
	v_fma_f64 v[27:28], v[57:58], v[41:42], v[27:28]
	v_fma_f64 v[25:26], v[59:60], v[41:42], v[25:26]
	v_xor_b32_e32 v29, 0x80000000, v44
	s_delay_alu instid0(VALU_DEP_1) | instskip(NEXT) | instid1(VALU_DEP_1)
	v_cndmask_b32_e64 v44, v44, v29, s0
	v_fma_f64 v[29:30], -v[59:60], v[43:44], v[27:28]
	s_delay_alu instid0(VALU_DEP_4)
	v_fma_f64 v[41:42], v[57:58], v[43:44], v[25:26]
	v_lshlrev_b64_e32 v[25:26], 4, v[51:52]
	ds_load_b128 v[49:52], v32 offset:48
	v_add_co_u32 v25, s2, v35, v25
	s_wait_alu 0xf1ff
	v_add_co_ci_u32_e64 v26, null, v36, v26, s2
	global_load_b128 v[25:28], v[25:26], off
	s_wait_loadcnt_dscnt 0x401
	v_fma_f64 v[29:30], v[65:66], v[9:10], v[29:30]
	v_fma_f64 v[9:10], v[67:68], v[9:10], v[41:42]
	v_xor_b32_e32 v41, 0x80000000, v12
	s_delay_alu instid0(VALU_DEP_1) | instskip(NEXT) | instid1(VALU_DEP_1)
	v_cndmask_b32_e64 v12, v12, v41, s0
	v_fma_f64 v[29:30], -v[67:68], v[11:12], v[29:30]
	s_delay_alu instid0(VALU_DEP_4) | instskip(SKIP_3) | instid1(VALU_DEP_2)
	v_fma_f64 v[57:58], v[65:66], v[11:12], v[9:10]
	v_lshlrev_b64_e32 v[9:10], 4, v[53:54]
	s_wait_loadcnt 0x3
	v_xor_b32_e32 v53, 0x80000000, v48
	v_add_co_u32 v41, s2, v35, v9
	s_wait_alu 0xf1ff
	s_delay_alu instid0(VALU_DEP_3)
	v_add_co_ci_u32_e64 v42, null, v36, v10, s2
	ds_load_b128 v[9:12], v32 offset:32
	v_cndmask_b32_e64 v48, v48, v53, s0
	global_load_b128 v[41:44], v[41:42], off
	s_wait_dscnt 0x0
	v_fma_f64 v[29:30], v[9:10], v[45:46], v[29:30]
	v_fma_f64 v[45:46], v[11:12], v[45:46], v[57:58]
	s_delay_alu instid0(VALU_DEP_2) | instskip(NEXT) | instid1(VALU_DEP_2)
	v_fma_f64 v[29:30], -v[11:12], v[47:48], v[29:30]
	v_fma_f64 v[45:46], v[9:10], v[47:48], v[45:46]
	v_lshlrev_b64_e32 v[9:10], 4, v[55:56]
	s_delay_alu instid0(VALU_DEP_1) | instskip(SKIP_1) | instid1(VALU_DEP_2)
	v_add_co_u32 v9, s2, v35, v9
	s_wait_alu 0xf1ff
	v_add_co_ci_u32_e64 v10, null, v36, v10, s2
	global_load_b128 v[9:12], v[9:10], off
	s_wait_loadcnt 0x4
	v_fma_f64 v[29:30], v[49:50], v[37:38], v[29:30]
	v_fma_f64 v[37:38], v[51:52], v[37:38], v[45:46]
	v_xor_b32_e32 v45, 0x80000000, v40
	s_delay_alu instid0(VALU_DEP_1) | instskip(NEXT) | instid1(VALU_DEP_1)
	v_cndmask_b32_e64 v40, v40, v45, s0
	v_fma_f64 v[29:30], -v[51:52], v[39:40], v[29:30]
	s_delay_alu instid0(VALU_DEP_4) | instskip(SKIP_4) | instid1(VALU_DEP_1)
	v_fma_f64 v[49:50], v[49:50], v[39:40], v[37:38]
	ds_load_b128 v[37:40], v32 offset:64
	ds_load_b128 v[45:48], v32 offset:80
	s_wait_loadcnt 0x3
	v_xor_b32_e32 v51, 0x80000000, v64
	v_cndmask_b32_e64 v64, v64, v51, s0
	s_wait_dscnt 0x1
	v_fma_f64 v[29:30], v[37:38], v[61:62], v[29:30]
	v_fma_f64 v[49:50], v[39:40], v[61:62], v[49:50]
	s_delay_alu instid0(VALU_DEP_2) | instskip(NEXT) | instid1(VALU_DEP_2)
	v_fma_f64 v[29:30], -v[39:40], v[63:64], v[29:30]
	v_fma_f64 v[37:38], v[37:38], v[63:64], v[49:50]
	s_wait_loadcnt_dscnt 0x200
	s_delay_alu instid0(VALU_DEP_2) | instskip(NEXT) | instid1(VALU_DEP_2)
	v_fma_f64 v[29:30], v[45:46], v[25:26], v[29:30]
	v_fma_f64 v[25:26], v[47:48], v[25:26], v[37:38]
	v_xor_b32_e32 v37, 0x80000000, v28
	s_delay_alu instid0(VALU_DEP_1) | instskip(NEXT) | instid1(VALU_DEP_1)
	v_cndmask_b32_e64 v28, v28, v37, s0
	v_fma_f64 v[29:30], -v[47:48], v[27:28], v[29:30]
	s_delay_alu instid0(VALU_DEP_4)
	v_fma_f64 v[45:46], v[45:46], v[27:28], v[25:26]
	ds_load_b128 v[25:28], v32 offset:96
	ds_load_b128 v[37:40], v32 offset:112
	s_wait_loadcnt_dscnt 0x101
	v_fma_f64 v[29:30], v[25:26], v[41:42], v[29:30]
	v_fma_f64 v[41:42], v[27:28], v[41:42], v[45:46]
	v_xor_b32_e32 v45, 0x80000000, v44
	s_delay_alu instid0(VALU_DEP_1) | instskip(NEXT) | instid1(VALU_DEP_1)
	v_cndmask_b32_e64 v44, v44, v45, s0
	v_fma_f64 v[27:28], -v[27:28], v[43:44], v[29:30]
	s_delay_alu instid0(VALU_DEP_4) | instskip(SKIP_1) | instid1(VALU_DEP_2)
	v_fma_f64 v[25:26], v[25:26], v[43:44], v[41:42]
	s_wait_loadcnt_dscnt 0x0
	v_fma_f64 v[27:28], v[37:38], v[9:10], v[27:28]
	s_delay_alu instid0(VALU_DEP_2) | instskip(SKIP_1) | instid1(VALU_DEP_1)
	v_fma_f64 v[9:10], v[39:40], v[9:10], v[25:26]
	v_xor_b32_e32 v25, 0x80000000, v12
	v_cndmask_b32_e64 v12, v12, v25, s0
	s_delay_alu instid0(VALU_DEP_1) | instskip(NEXT) | instid1(VALU_DEP_4)
	v_fma_f64 v[27:28], -v[39:40], v[11:12], v[27:28]
	v_fma_f64 v[25:26], v[37:38], v[11:12], v[9:10]
	s_branch .LBB11_6
.LBB11_11:
	s_or_b32 exec_lo, exec_lo, s9
.LBB11_12:
	s_delay_alu instid0(SALU_CYCLE_1)
	s_or_b32 exec_lo, exec_lo, s8
	v_cmp_gt_i64_e32 vcc_lo, s[6:7], v[15:16]
	s_and_b32 exec_lo, exec_lo, vcc_lo
	s_cbranch_execz .LBB11_23
; %bb.13:
	v_mul_f64_e64 v[9:10], v[25:26], -v[7:8]
	v_mul_f64_e32 v[11:12], v[5:6], v[25:26]
	s_wait_dscnt 0x0
	v_cmp_neq_f64_e32 vcc_lo, 0, v[1:2]
	v_cmp_neq_f64_e64 s0, 0, v[3:4]
	s_delay_alu instid0(VALU_DEP_4) | instskip(NEXT) | instid1(VALU_DEP_4)
	v_fma_f64 v[5:6], v[5:6], v[27:28], v[9:10]
	v_fma_f64 v[7:8], v[7:8], v[27:28], v[11:12]
	s_or_b32 s3, vcc_lo, s0
	s_wait_kmcnt 0x0
	s_cmp_lg_u32 s30, 1
	s_mul_u64 s[0:1], s[28:29], s[4:5]
	s_cselect_b32 s2, -1, 0
	s_wait_alu 0xfffe
	s_and_saveexec_b32 s4, s3
	s_wait_alu 0xfffe
	s_xor_b32 s3, exec_lo, s4
	s_cbranch_execz .LBB11_18
; %bb.14:
	s_and_b32 vcc_lo, exec_lo, s2
	s_mov_b32 s4, -1
	s_wait_alu 0xfffe
	s_cbranch_vccz .LBB11_16
; %bb.15:
	v_mad_co_u64_u32 v[9:10], null, s26, v13, 0
	s_lshl_b64 s[4:5], s[0:1], 4
	v_mov_b32_e32 v0, v10
	s_delay_alu instid0(VALU_DEP_1) | instskip(SKIP_1) | instid1(VALU_DEP_2)
	v_mad_co_u64_u32 v[10:11], null, s27, v13, v[0:1]
	v_lshlrev_b32_e32 v0, 4, v15
	v_lshlrev_b64_e32 v[9:10], 4, v[9:10]
	s_delay_alu instid0(VALU_DEP_1) | instskip(SKIP_1) | instid1(VALU_DEP_2)
	v_add_co_u32 v9, vcc_lo, s24, v9
	s_wait_alu 0xfffd
	v_add_co_ci_u32_e64 v10, null, s25, v10, vcc_lo
	s_delay_alu instid0(VALU_DEP_2) | instskip(SKIP_1) | instid1(VALU_DEP_2)
	v_add_co_u32 v0, vcc_lo, v9, v0
	s_wait_alu 0xfffd
	v_add_co_ci_u32_e64 v9, null, 0, v10, vcc_lo
	s_wait_alu 0xfffe
	s_delay_alu instid0(VALU_DEP_2) | instskip(SKIP_1) | instid1(VALU_DEP_2)
	v_add_co_u32 v16, vcc_lo, v0, s4
	s_wait_alu 0xfffd
	v_add_co_ci_u32_e64 v17, null, s5, v9, vcc_lo
	s_mov_b32 s4, 0
	global_load_b128 v[9:12], v[16:17], off
	s_wait_loadcnt 0x0
	v_fma_f64 v[18:19], v[1:2], v[9:10], v[5:6]
	v_fma_f64 v[20:21], v[3:4], v[9:10], v[7:8]
	s_delay_alu instid0(VALU_DEP_2) | instskip(NEXT) | instid1(VALU_DEP_2)
	v_fma_f64 v[9:10], -v[3:4], v[11:12], v[18:19]
	v_fma_f64 v[11:12], v[1:2], v[11:12], v[20:21]
	global_store_b128 v[16:17], v[9:12], off
.LBB11_16:
	s_wait_alu 0xfffe
	s_and_not1_b32 vcc_lo, exec_lo, s4
	s_wait_alu 0xfffe
	s_cbranch_vccnz .LBB11_18
; %bb.17:
	v_mad_co_u64_u32 v[9:10], null, s26, v15, 0
	s_lshl_b64 s[4:5], s[0:1], 4
	v_mov_b32_e32 v0, v10
	s_delay_alu instid0(VALU_DEP_1) | instskip(SKIP_1) | instid1(VALU_DEP_2)
	v_mad_co_u64_u32 v[10:11], null, s27, v15, v[0:1]
	v_lshlrev_b64_e32 v[11:12], 4, v[13:14]
                                        ; implicit-def: $vgpr15_vgpr16
	v_lshlrev_b64_e32 v[9:10], 4, v[9:10]
	s_delay_alu instid0(VALU_DEP_1) | instskip(SKIP_1) | instid1(VALU_DEP_2)
	v_add_co_u32 v0, vcc_lo, s24, v9
	s_wait_alu 0xfffd
	v_add_co_ci_u32_e64 v9, null, s25, v10, vcc_lo
	s_delay_alu instid0(VALU_DEP_2) | instskip(SKIP_1) | instid1(VALU_DEP_2)
	v_add_co_u32 v0, vcc_lo, v0, v11
	s_wait_alu 0xfffd
	v_add_co_ci_u32_e64 v9, null, v9, v12, vcc_lo
	s_wait_alu 0xfffe
	s_delay_alu instid0(VALU_DEP_2) | instskip(SKIP_1) | instid1(VALU_DEP_2)
	v_add_co_u32 v13, vcc_lo, v0, s4
	s_wait_alu 0xfffd
	v_add_co_ci_u32_e64 v14, null, s5, v9, vcc_lo
	global_load_b128 v[9:12], v[13:14], off
	s_wait_loadcnt 0x0
	v_fma_f64 v[5:6], v[1:2], v[9:10], v[5:6]
	v_fma_f64 v[7:8], v[3:4], v[9:10], v[7:8]
	s_delay_alu instid0(VALU_DEP_2) | instskip(NEXT) | instid1(VALU_DEP_2)
	v_fma_f64 v[3:4], -v[3:4], v[11:12], v[5:6]
	v_fma_f64 v[5:6], v[1:2], v[11:12], v[7:8]
	global_store_b128 v[13:14], v[3:6], off
                                        ; implicit-def: $vgpr13_vgpr14
                                        ; implicit-def: $vgpr5_vgpr6
.LBB11_18:
	s_wait_alu 0xfffe
	s_and_not1_saveexec_b32 s3, s3
	s_cbranch_execz .LBB11_23
; %bb.19:
	s_and_b32 vcc_lo, exec_lo, s2
	s_mov_b32 s2, -1
	s_wait_alu 0xfffe
	s_cbranch_vccz .LBB11_21
; %bb.20:
	v_mad_co_u64_u32 v[0:1], null, s26, v13, 0
	s_lshl_b64 s[2:3], s[0:1], 4
	v_mad_co_u64_u32 v[1:2], null, s27, v13, v[1:2]
	v_lshlrev_b32_e32 v2, 4, v15
	s_delay_alu instid0(VALU_DEP_2) | instskip(NEXT) | instid1(VALU_DEP_1)
	v_lshlrev_b64_e32 v[0:1], 4, v[0:1]
	v_add_co_u32 v0, vcc_lo, s24, v0
	s_wait_alu 0xfffd
	s_delay_alu instid0(VALU_DEP_2) | instskip(NEXT) | instid1(VALU_DEP_2)
	v_add_co_ci_u32_e64 v1, null, s25, v1, vcc_lo
	v_add_co_u32 v0, vcc_lo, v0, v2
	s_wait_alu 0xfffd
	s_delay_alu instid0(VALU_DEP_2) | instskip(SKIP_1) | instid1(VALU_DEP_2)
	v_add_co_ci_u32_e64 v1, null, 0, v1, vcc_lo
	s_wait_alu 0xfffe
	v_add_co_u32 v0, vcc_lo, v0, s2
	s_wait_alu 0xfffd
	s_delay_alu instid0(VALU_DEP_2)
	v_add_co_ci_u32_e64 v1, null, s3, v1, vcc_lo
	s_mov_b32 s2, 0
	global_store_b128 v[0:1], v[5:8], off
.LBB11_21:
	s_wait_alu 0xfffe
	s_and_not1_b32 vcc_lo, exec_lo, s2
	s_wait_alu 0xfffe
	s_cbranch_vccnz .LBB11_23
; %bb.22:
	v_mad_co_u64_u32 v[0:1], null, s26, v15, 0
	s_lshl_b64 s[0:1], s[0:1], 4
	v_mad_co_u64_u32 v[1:2], null, s27, v15, v[1:2]
	v_lshlrev_b64_e32 v[2:3], 4, v[13:14]
	s_delay_alu instid0(VALU_DEP_2) | instskip(NEXT) | instid1(VALU_DEP_1)
	v_lshlrev_b64_e32 v[0:1], 4, v[0:1]
	v_add_co_u32 v0, vcc_lo, s24, v0
	s_wait_alu 0xfffd
	s_delay_alu instid0(VALU_DEP_2) | instskip(NEXT) | instid1(VALU_DEP_2)
	v_add_co_ci_u32_e64 v1, null, s25, v1, vcc_lo
	v_add_co_u32 v0, vcc_lo, v0, v2
	s_wait_alu 0xfffd
	s_delay_alu instid0(VALU_DEP_2) | instskip(SKIP_1) | instid1(VALU_DEP_2)
	v_add_co_ci_u32_e64 v1, null, v1, v3, vcc_lo
	s_wait_alu 0xfffe
	v_add_co_u32 v0, vcc_lo, v0, s0
	s_wait_alu 0xfffd
	s_delay_alu instid0(VALU_DEP_2)
	v_add_co_ci_u32_e64 v1, null, s1, v1, vcc_lo
	global_store_b128 v[0:1], v[5:8], off
.LBB11_23:
	s_endpgm
	.section	.rodata,"a",@progbits
	.p2align	6, 0x0
	.amdhsa_kernel _ZN9rocsparse31csrmmnn_row_split_shared_kernelILj256ELj8E21rocsparse_complex_numIdEllS2_S2_S2_EEvNS_24const_host_device_scalarIT1_EES5_bbbT3_S6_llPKT2_PKS6_PKT4_PKT5_llPT6_ll16rocsparse_order_21rocsparse_index_base_
		.amdhsa_group_segment_fixed_size 6144
		.amdhsa_private_segment_fixed_size 0
		.amdhsa_kernarg_size 152
		.amdhsa_user_sgpr_count 2
		.amdhsa_user_sgpr_dispatch_ptr 0
		.amdhsa_user_sgpr_queue_ptr 0
		.amdhsa_user_sgpr_kernarg_segment_ptr 1
		.amdhsa_user_sgpr_dispatch_id 0
		.amdhsa_user_sgpr_private_segment_size 0
		.amdhsa_wavefront_size32 1
		.amdhsa_uses_dynamic_stack 0
		.amdhsa_enable_private_segment 0
		.amdhsa_system_sgpr_workgroup_id_x 1
		.amdhsa_system_sgpr_workgroup_id_y 1
		.amdhsa_system_sgpr_workgroup_id_z 1
		.amdhsa_system_sgpr_workgroup_info 0
		.amdhsa_system_vgpr_workitem_id 0
		.amdhsa_next_free_vgpr 69
		.amdhsa_next_free_sgpr 32
		.amdhsa_reserve_vcc 1
		.amdhsa_float_round_mode_32 0
		.amdhsa_float_round_mode_16_64 0
		.amdhsa_float_denorm_mode_32 3
		.amdhsa_float_denorm_mode_16_64 3
		.amdhsa_fp16_overflow 0
		.amdhsa_workgroup_processor_mode 1
		.amdhsa_memory_ordered 1
		.amdhsa_forward_progress 1
		.amdhsa_inst_pref_size 22
		.amdhsa_round_robin_scheduling 0
		.amdhsa_exception_fp_ieee_invalid_op 0
		.amdhsa_exception_fp_denorm_src 0
		.amdhsa_exception_fp_ieee_div_zero 0
		.amdhsa_exception_fp_ieee_overflow 0
		.amdhsa_exception_fp_ieee_underflow 0
		.amdhsa_exception_fp_ieee_inexact 0
		.amdhsa_exception_int_div_zero 0
	.end_amdhsa_kernel
	.section	.text._ZN9rocsparse31csrmmnn_row_split_shared_kernelILj256ELj8E21rocsparse_complex_numIdEllS2_S2_S2_EEvNS_24const_host_device_scalarIT1_EES5_bbbT3_S6_llPKT2_PKS6_PKT4_PKT5_llPT6_ll16rocsparse_order_21rocsparse_index_base_,"axG",@progbits,_ZN9rocsparse31csrmmnn_row_split_shared_kernelILj256ELj8E21rocsparse_complex_numIdEllS2_S2_S2_EEvNS_24const_host_device_scalarIT1_EES5_bbbT3_S6_llPKT2_PKS6_PKT4_PKT5_llPT6_ll16rocsparse_order_21rocsparse_index_base_,comdat
.Lfunc_end11:
	.size	_ZN9rocsparse31csrmmnn_row_split_shared_kernelILj256ELj8E21rocsparse_complex_numIdEllS2_S2_S2_EEvNS_24const_host_device_scalarIT1_EES5_bbbT3_S6_llPKT2_PKS6_PKT4_PKT5_llPT6_ll16rocsparse_order_21rocsparse_index_base_, .Lfunc_end11-_ZN9rocsparse31csrmmnn_row_split_shared_kernelILj256ELj8E21rocsparse_complex_numIdEllS2_S2_S2_EEvNS_24const_host_device_scalarIT1_EES5_bbbT3_S6_llPKT2_PKS6_PKT4_PKT5_llPT6_ll16rocsparse_order_21rocsparse_index_base_
                                        ; -- End function
	.set _ZN9rocsparse31csrmmnn_row_split_shared_kernelILj256ELj8E21rocsparse_complex_numIdEllS2_S2_S2_EEvNS_24const_host_device_scalarIT1_EES5_bbbT3_S6_llPKT2_PKS6_PKT4_PKT5_llPT6_ll16rocsparse_order_21rocsparse_index_base_.num_vgpr, 69
	.set _ZN9rocsparse31csrmmnn_row_split_shared_kernelILj256ELj8E21rocsparse_complex_numIdEllS2_S2_S2_EEvNS_24const_host_device_scalarIT1_EES5_bbbT3_S6_llPKT2_PKS6_PKT4_PKT5_llPT6_ll16rocsparse_order_21rocsparse_index_base_.num_agpr, 0
	.set _ZN9rocsparse31csrmmnn_row_split_shared_kernelILj256ELj8E21rocsparse_complex_numIdEllS2_S2_S2_EEvNS_24const_host_device_scalarIT1_EES5_bbbT3_S6_llPKT2_PKS6_PKT4_PKT5_llPT6_ll16rocsparse_order_21rocsparse_index_base_.numbered_sgpr, 32
	.set _ZN9rocsparse31csrmmnn_row_split_shared_kernelILj256ELj8E21rocsparse_complex_numIdEllS2_S2_S2_EEvNS_24const_host_device_scalarIT1_EES5_bbbT3_S6_llPKT2_PKS6_PKT4_PKT5_llPT6_ll16rocsparse_order_21rocsparse_index_base_.num_named_barrier, 0
	.set _ZN9rocsparse31csrmmnn_row_split_shared_kernelILj256ELj8E21rocsparse_complex_numIdEllS2_S2_S2_EEvNS_24const_host_device_scalarIT1_EES5_bbbT3_S6_llPKT2_PKS6_PKT4_PKT5_llPT6_ll16rocsparse_order_21rocsparse_index_base_.private_seg_size, 0
	.set _ZN9rocsparse31csrmmnn_row_split_shared_kernelILj256ELj8E21rocsparse_complex_numIdEllS2_S2_S2_EEvNS_24const_host_device_scalarIT1_EES5_bbbT3_S6_llPKT2_PKS6_PKT4_PKT5_llPT6_ll16rocsparse_order_21rocsparse_index_base_.uses_vcc, 1
	.set _ZN9rocsparse31csrmmnn_row_split_shared_kernelILj256ELj8E21rocsparse_complex_numIdEllS2_S2_S2_EEvNS_24const_host_device_scalarIT1_EES5_bbbT3_S6_llPKT2_PKS6_PKT4_PKT5_llPT6_ll16rocsparse_order_21rocsparse_index_base_.uses_flat_scratch, 0
	.set _ZN9rocsparse31csrmmnn_row_split_shared_kernelILj256ELj8E21rocsparse_complex_numIdEllS2_S2_S2_EEvNS_24const_host_device_scalarIT1_EES5_bbbT3_S6_llPKT2_PKS6_PKT4_PKT5_llPT6_ll16rocsparse_order_21rocsparse_index_base_.has_dyn_sized_stack, 0
	.set _ZN9rocsparse31csrmmnn_row_split_shared_kernelILj256ELj8E21rocsparse_complex_numIdEllS2_S2_S2_EEvNS_24const_host_device_scalarIT1_EES5_bbbT3_S6_llPKT2_PKS6_PKT4_PKT5_llPT6_ll16rocsparse_order_21rocsparse_index_base_.has_recursion, 0
	.set _ZN9rocsparse31csrmmnn_row_split_shared_kernelILj256ELj8E21rocsparse_complex_numIdEllS2_S2_S2_EEvNS_24const_host_device_scalarIT1_EES5_bbbT3_S6_llPKT2_PKS6_PKT4_PKT5_llPT6_ll16rocsparse_order_21rocsparse_index_base_.has_indirect_call, 0
	.section	.AMDGPU.csdata,"",@progbits
; Kernel info:
; codeLenInByte = 2712
; TotalNumSgprs: 34
; NumVgprs: 69
; ScratchSize: 0
; MemoryBound: 1
; FloatMode: 240
; IeeeMode: 1
; LDSByteSize: 6144 bytes/workgroup (compile time only)
; SGPRBlocks: 0
; VGPRBlocks: 8
; NumSGPRsForWavesPerEU: 34
; NumVGPRsForWavesPerEU: 69
; Occupancy: 16
; WaveLimiterHint : 0
; COMPUTE_PGM_RSRC2:SCRATCH_EN: 0
; COMPUTE_PGM_RSRC2:USER_SGPR: 2
; COMPUTE_PGM_RSRC2:TRAP_HANDLER: 0
; COMPUTE_PGM_RSRC2:TGID_X_EN: 1
; COMPUTE_PGM_RSRC2:TGID_Y_EN: 1
; COMPUTE_PGM_RSRC2:TGID_Z_EN: 1
; COMPUTE_PGM_RSRC2:TIDIG_COMP_CNT: 0
	.section	.text._ZN9rocsparse31csrmmnn_row_split_shared_kernelILj256ELj8EfiiDF16_DF16_fEEvNS_24const_host_device_scalarIT1_EES3_bbbT3_S4_llPKT2_PKS4_PKT4_PKT5_llPT6_ll16rocsparse_order_21rocsparse_index_base_,"axG",@progbits,_ZN9rocsparse31csrmmnn_row_split_shared_kernelILj256ELj8EfiiDF16_DF16_fEEvNS_24const_host_device_scalarIT1_EES3_bbbT3_S4_llPKT2_PKS4_PKT4_PKT5_llPT6_ll16rocsparse_order_21rocsparse_index_base_,comdat
	.protected	_ZN9rocsparse31csrmmnn_row_split_shared_kernelILj256ELj8EfiiDF16_DF16_fEEvNS_24const_host_device_scalarIT1_EES3_bbbT3_S4_llPKT2_PKS4_PKT4_PKT5_llPT6_ll16rocsparse_order_21rocsparse_index_base_ ; -- Begin function _ZN9rocsparse31csrmmnn_row_split_shared_kernelILj256ELj8EfiiDF16_DF16_fEEvNS_24const_host_device_scalarIT1_EES3_bbbT3_S4_llPKT2_PKS4_PKT4_PKT5_llPT6_ll16rocsparse_order_21rocsparse_index_base_
	.globl	_ZN9rocsparse31csrmmnn_row_split_shared_kernelILj256ELj8EfiiDF16_DF16_fEEvNS_24const_host_device_scalarIT1_EES3_bbbT3_S4_llPKT2_PKS4_PKT4_PKT5_llPT6_ll16rocsparse_order_21rocsparse_index_base_
	.p2align	8
	.type	_ZN9rocsparse31csrmmnn_row_split_shared_kernelILj256ELj8EfiiDF16_DF16_fEEvNS_24const_host_device_scalarIT1_EES3_bbbT3_S4_llPKT2_PKS4_PKT4_PKT5_llPT6_ll16rocsparse_order_21rocsparse_index_base_,@function
_ZN9rocsparse31csrmmnn_row_split_shared_kernelILj256ELj8EfiiDF16_DF16_fEEvNS_24const_host_device_scalarIT1_EES3_bbbT3_S4_llPKT2_PKS4_PKT4_PKT5_llPT6_ll16rocsparse_order_21rocsparse_index_base_: ; @_ZN9rocsparse31csrmmnn_row_split_shared_kernelILj256ELj8EfiiDF16_DF16_fEEvNS_24const_host_device_scalarIT1_EES3_bbbT3_S4_llPKT2_PKS4_PKT4_PKT5_llPT6_ll16rocsparse_order_21rocsparse_index_base_
; %bb.0:
	s_clause 0x1
	s_load_b96 s[24:26], s[0:1], 0x10
	s_load_b128 s[20:23], s[0:1], 0x0
	s_wait_kmcnt 0x0
	s_bitcmp1_b32 s24, 0
	s_cselect_b32 s2, -1, 0
	s_delay_alu instid0(SALU_CYCLE_1)
	s_and_b32 vcc_lo, exec_lo, s2
	s_xor_b32 s2, s2, -1
	s_cbranch_vccnz .LBB12_2
; %bb.1:
	s_load_b32 s20, s[20:21], 0x0
.LBB12_2:
	s_and_not1_b32 vcc_lo, exec_lo, s2
	s_cbranch_vccnz .LBB12_4
; %bb.3:
	s_load_b32 s22, s[22:23], 0x0
.LBB12_4:
	s_wait_kmcnt 0x0
	s_cmp_eq_f32 s20, 0
	s_cselect_b32 s2, -1, 0
	s_cmp_eq_f32 s22, 1.0
	s_cselect_b32 s3, -1, 0
	s_delay_alu instid0(SALU_CYCLE_1) | instskip(NEXT) | instid1(SALU_CYCLE_1)
	s_and_b32 s2, s2, s3
	s_and_b32 vcc_lo, exec_lo, s2
	s_cbranch_vccnz .LBB12_21
; %bb.5:
	v_lshl_or_b32 v1, ttmp9, 8, v0
	s_mov_b32 s2, exec_lo
	s_delay_alu instid0(VALU_DEP_1) | instskip(NEXT) | instid1(VALU_DEP_1)
	v_lshrrev_b32_e32 v4, 3, v1
	v_cmpx_gt_i32_e64 s25, v4
	s_cbranch_execz .LBB12_21
; %bb.6:
	s_load_b512 s[4:19], s[0:1], 0x20
	s_mov_b32 s25, 0
	s_lshr_b32 s24, ttmp7, 16
	v_lshlrev_b32_e32 v3, 2, v4
	v_dual_mov_b32 v7, 0 :: v_dual_and_b32 v6, 7, v0
	s_wait_kmcnt 0x0
	s_wait_alu 0xfffe
	s_mul_u64 s[2:3], s[4:5], s[24:25]
	s_load_b64 s[4:5], s[0:1], 0x78
	s_lshl_b64 s[2:3], s[2:3], 2
	s_delay_alu instid0(SALU_CYCLE_1)
	s_add_nc_u64 s[2:3], s[8:9], s[2:3]
	global_load_b64 v[1:2], v3, s[2:3]
	s_and_b32 s2, ttmp7, 0xffff
	s_mov_b32 s3, exec_lo
	v_lshl_or_b32 v5, s2, 3, v6
	s_wait_loadcnt 0x0
	v_cmpx_lt_i32_e64 v1, v2
	s_cbranch_execz .LBB12_14
; %bb.7:
	s_delay_alu instid0(VALU_DEP_2)
	v_mad_co_u64_u32 v[7:8], null, s16, v5, 0
	s_mul_u64 s[8:9], s[18:19], s[24:25]
	v_lshlrev_b32_e32 v12, 2, v6
	s_lshl_b64 s[8:9], s[8:9], 1
	s_wait_kmcnt 0x0
	v_subrev_nc_u32_e32 v1, s5, v1
	s_mul_u64 s[6:7], s[6:7], s[24:25]
	v_cmp_gt_i32_e32 vcc_lo, s26, v5
	v_mad_co_u64_u32 v[8:9], null, s17, v5, v[8:9]
	v_lshlrev_b32_e32 v9, 2, v0
	v_subrev_nc_u32_e32 v0, s5, v2
	s_delay_alu instid0(VALU_DEP_2) | instskip(NEXT) | instid1(VALU_DEP_4)
	v_and_b32_e32 v2, 0x3e0, v9
	v_lshlrev_b64_e32 v[10:11], 1, v[7:8]
	s_delay_alu instid0(VALU_DEP_2) | instskip(NEXT) | instid1(VALU_DEP_2)
	v_or_b32_e32 v9, 0x400, v2
	v_add_co_u32 v7, s2, s14, v10
	s_wait_alu 0xf1ff
	s_delay_alu instid0(VALU_DEP_3) | instskip(NEXT) | instid1(VALU_DEP_2)
	v_add_co_ci_u32_e64 v13, null, s15, v11, s2
	v_add_co_u32 v11, s2, v7, s8
	v_mov_b32_e32 v7, 0
	v_or_b32_e32 v8, v2, v12
	v_or_b32_e32 v10, v9, v12
	s_wait_alu 0xf1ff
	v_add_co_ci_u32_e64 v12, null, s9, v13, s2
	s_mov_b32 s8, s25
	s_branch .LBB12_9
.LBB12_8:                               ;   in Loop: Header=BB12_9 Depth=1
	s_wait_alu 0xfffe
	s_or_b32 exec_lo, exec_lo, s9
	v_add_nc_u32_e32 v1, 8, v1
	s_delay_alu instid0(VALU_DEP_1)
	v_cmp_ge_i32_e64 s2, v1, v0
	s_or_b32 s8, s2, s8
	s_wait_alu 0xfffe
	s_and_not1_b32 exec_lo, exec_lo, s8
	s_cbranch_execz .LBB12_13
.LBB12_9:                               ; =>This Inner Loop Header: Depth=1
	v_dual_mov_b32 v14, 0 :: v_dual_add_nc_u32 v13, v6, v1
	v_mov_b32_e32 v15, 0
	s_mov_b32 s9, exec_lo
	s_barrier_signal -1
	s_barrier_wait -1
	global_inv scope:SCOPE_SE
	v_cmpx_lt_i32_e64 v13, v0
	s_cbranch_execz .LBB12_11
; %bb.10:                               ;   in Loop: Header=BB12_9 Depth=1
	v_ashrrev_i32_e32 v14, 31, v13
	v_add_co_u32 v13, s2, s6, v13
	s_wait_alu 0xf1ff
	s_delay_alu instid0(VALU_DEP_2) | instskip(NEXT) | instid1(VALU_DEP_1)
	v_add_co_ci_u32_e64 v14, null, s7, v14, s2
	v_lshlrev_b64_e32 v[15:16], 2, v[13:14]
	v_lshlrev_b64_e32 v[13:14], 1, v[13:14]
	s_delay_alu instid0(VALU_DEP_2) | instskip(SKIP_1) | instid1(VALU_DEP_3)
	v_add_co_u32 v15, s2, s10, v15
	s_wait_alu 0xf1ff
	v_add_co_ci_u32_e64 v16, null, s11, v16, s2
	s_delay_alu instid0(VALU_DEP_3)
	v_add_co_u32 v13, s2, s12, v13
	s_wait_alu 0xf1ff
	v_add_co_ci_u32_e64 v14, null, s13, v14, s2
	global_load_b32 v15, v[15:16], off
	global_load_u16 v13, v[13:14], off
	s_wait_loadcnt 0x1
	v_subrev_nc_u32_e32 v14, s5, v15
	s_wait_loadcnt 0x0
	v_cvt_f32_f16_e32 v15, v13
.LBB12_11:                              ;   in Loop: Header=BB12_9 Depth=1
	s_wait_alu 0xfffe
	s_or_b32 exec_lo, exec_lo, s9
	ds_store_b32 v8, v14
	ds_store_b32 v10, v15
	s_wait_loadcnt_dscnt 0x0
	s_barrier_signal -1
	s_barrier_wait -1
	global_inv scope:SCOPE_SE
	s_and_saveexec_b32 s9, vcc_lo
	s_cbranch_execz .LBB12_8
; %bb.12:                               ;   in Loop: Header=BB12_9 Depth=1
	ds_load_b128 v[13:16], v2
	ds_load_b128 v[17:20], v2 offset:16
	s_wait_dscnt 0x1
	v_ashrrev_i32_e32 v22, 31, v13
	v_mov_b32_e32 v21, v13
	v_ashrrev_i32_e32 v24, 31, v14
	v_mov_b32_e32 v23, v14
	;; [unrolled: 2-line block ×3, first 2 shown]
	v_lshlrev_b64_e32 v[21:22], 1, v[21:22]
	v_ashrrev_i32_e32 v26, 31, v16
	v_mov_b32_e32 v25, v16
	v_lshlrev_b64_e32 v[23:24], 1, v[23:24]
	v_lshlrev_b64_e32 v[13:14], 1, v[13:14]
	s_wait_dscnt 0x0
	v_ashrrev_i32_e32 v16, 31, v17
	v_add_co_u32 v21, s2, v11, v21
	v_lshlrev_b64_e32 v[25:26], 1, v[25:26]
	s_wait_alu 0xf1ff
	v_add_co_ci_u32_e64 v22, null, v12, v22, s2
	v_add_co_u32 v23, s2, v11, v23
	s_wait_alu 0xf1ff
	v_add_co_ci_u32_e64 v24, null, v12, v24, s2
	v_add_co_u32 v13, s2, v11, v13
	;; [unrolled: 3-line block ×3, first 2 shown]
	v_mov_b32_e32 v15, v17
	s_wait_alu 0xf1ff
	v_add_co_ci_u32_e64 v26, null, v12, v26, s2
	v_ashrrev_i32_e32 v28, 31, v18
	v_mov_b32_e32 v27, v18
	s_clause 0x3
	global_load_u16 v22, v[21:22], off
	global_load_u16 v23, v[23:24], off
	;; [unrolled: 1-line block ×4, first 2 shown]
	v_lshlrev_b64_e32 v[15:16], 1, v[15:16]
	v_ashrrev_i32_e32 v18, 31, v19
	v_mov_b32_e32 v17, v19
	v_lshlrev_b64_e32 v[13:14], 1, v[27:28]
	v_ashrrev_i32_e32 v21, 31, v20
	v_add_co_u32 v15, s2, v11, v15
	s_wait_alu 0xf1ff
	v_add_co_ci_u32_e64 v16, null, v12, v16, s2
	s_delay_alu instid0(VALU_DEP_4)
	v_add_co_u32 v13, s2, v11, v13
	s_wait_alu 0xf1ff
	v_add_co_ci_u32_e64 v14, null, v12, v14, s2
	v_lshlrev_b64_e32 v[17:18], 1, v[17:18]
	s_clause 0x1
	global_load_u16 v26, v[15:16], off
	global_load_u16 v27, v[13:14], off
	v_lshlrev_b64_e32 v[13:14], 1, v[20:21]
	v_add_co_u32 v15, s2, v11, v17
	s_wait_alu 0xf1ff
	v_add_co_ci_u32_e64 v16, null, v12, v18, s2
	s_delay_alu instid0(VALU_DEP_3)
	v_add_co_u32 v13, s2, v11, v13
	s_wait_alu 0xf1ff
	v_add_co_ci_u32_e64 v14, null, v12, v14, s2
	s_clause 0x1
	global_load_u16 v21, v[15:16], off
	global_load_u16 v28, v[13:14], off
	ds_load_b128 v[13:16], v9
	ds_load_b128 v[17:20], v9 offset:16
	s_wait_loadcnt_dscnt 0x701
	v_fma_mix_f32 v7, v13, v22, v7 op_sel_hi:[0,1,0]
	s_wait_loadcnt 0x6
	s_delay_alu instid0(VALU_DEP_1) | instskip(SKIP_1) | instid1(VALU_DEP_1)
	v_fma_mix_f32 v7, v14, v23, v7 op_sel_hi:[0,1,0]
	s_wait_loadcnt 0x5
	v_fma_mix_f32 v7, v15, v24, v7 op_sel_hi:[0,1,0]
	s_wait_loadcnt 0x4
	s_delay_alu instid0(VALU_DEP_1) | instskip(SKIP_1) | instid1(VALU_DEP_1)
	v_fma_mix_f32 v7, v16, v25, v7 op_sel_hi:[0,1,0]
	s_wait_loadcnt_dscnt 0x300
	v_fma_mix_f32 v7, v17, v26, v7 op_sel_hi:[0,1,0]
	s_wait_loadcnt 0x2
	s_delay_alu instid0(VALU_DEP_1) | instskip(SKIP_1) | instid1(VALU_DEP_1)
	v_fma_mix_f32 v7, v18, v27, v7 op_sel_hi:[0,1,0]
	s_wait_loadcnt 0x1
	v_fma_mix_f32 v7, v19, v21, v7 op_sel_hi:[0,1,0]
	s_wait_loadcnt 0x0
	s_delay_alu instid0(VALU_DEP_1)
	v_fma_mix_f32 v7, v20, v28, v7 op_sel_hi:[0,1,0]
	s_branch .LBB12_8
.LBB12_13:
	s_or_b32 exec_lo, exec_lo, s8
.LBB12_14:
	s_delay_alu instid0(SALU_CYCLE_1)
	s_or_b32 exec_lo, exec_lo, s3
	v_cmp_gt_i32_e32 vcc_lo, s26, v5
	s_and_b32 exec_lo, exec_lo, vcc_lo
	s_cbranch_execz .LBB12_21
; %bb.15:
	s_clause 0x1
	s_load_b64 s[8:9], s[0:1], 0x70
	s_load_b128 s[0:3], s[0:1], 0x60
	s_wait_kmcnt 0x0
	s_cmp_lg_u32 s4, 1
	v_mul_f32_e32 v0, s20, v7
	s_cselect_b32 s6, -1, 0
	s_cmp_neq_f32 s22, 0
	s_mul_u64 s[4:5], s[8:9], s[24:25]
	s_cbranch_scc0 .LBB12_22
; %bb.16:
	s_wait_alu 0xfffe
	s_and_b32 vcc_lo, exec_lo, s6
	s_mov_b32 s7, -1
	s_cbranch_vccz .LBB12_18
; %bb.17:
	v_mad_co_u64_u32 v[1:2], null, s2, v4, 0
	s_lshl_b64 s[8:9], s[4:5], 2
	s_mov_b32 s7, 0
	v_mad_co_u64_u32 v[6:7], null, s3, v4, v[2:3]
	s_delay_alu instid0(VALU_DEP_1) | instskip(SKIP_1) | instid1(VALU_DEP_2)
	v_mov_b32_e32 v2, v6
	v_lshlrev_b32_e32 v6, 2, v5
	v_lshlrev_b64_e32 v[1:2], 2, v[1:2]
	s_delay_alu instid0(VALU_DEP_1) | instskip(NEXT) | instid1(VALU_DEP_1)
	v_add_co_u32 v1, vcc_lo, s0, v1
	v_add_co_ci_u32_e64 v2, null, s1, v2, vcc_lo
	s_delay_alu instid0(VALU_DEP_2) | instskip(SKIP_1) | instid1(VALU_DEP_2)
	v_add_co_u32 v1, vcc_lo, v1, v6
	s_wait_alu 0xfffd
	v_add_co_ci_u32_e64 v2, null, 0, v2, vcc_lo
	s_wait_alu 0xfffe
	s_delay_alu instid0(VALU_DEP_2) | instskip(SKIP_1) | instid1(VALU_DEP_2)
	v_add_co_u32 v1, vcc_lo, v1, s8
	s_wait_alu 0xfffd
	v_add_co_ci_u32_e64 v2, null, s9, v2, vcc_lo
	global_load_b32 v6, v[1:2], off
	s_wait_loadcnt 0x0
	v_fma_f32 v6, s22, v6, v0
	global_store_b32 v[1:2], v6, off
.LBB12_18:
	s_wait_alu 0xfffe
	s_and_not1_b32 vcc_lo, exec_lo, s7
	s_wait_alu 0xfffe
	s_cbranch_vccnz .LBB12_20
; %bb.19:
	v_mad_co_u64_u32 v[1:2], null, s2, v5, 0
	s_lshl_b64 s[8:9], s[4:5], 2
	v_mad_co_u64_u32 v[6:7], null, s3, v5, v[2:3]
	s_delay_alu instid0(VALU_DEP_1) | instskip(NEXT) | instid1(VALU_DEP_1)
	v_mov_b32_e32 v2, v6
	v_lshlrev_b64_e32 v[1:2], 2, v[1:2]
	s_delay_alu instid0(VALU_DEP_1) | instskip(SKIP_1) | instid1(VALU_DEP_2)
	v_add_co_u32 v1, vcc_lo, s0, v1
	s_wait_alu 0xfffd
	v_add_co_ci_u32_e64 v2, null, s1, v2, vcc_lo
	s_delay_alu instid0(VALU_DEP_2) | instskip(SKIP_1) | instid1(VALU_DEP_2)
	v_add_co_u32 v1, vcc_lo, v1, v3
	s_wait_alu 0xfffd
	v_add_co_ci_u32_e64 v2, null, 0, v2, vcc_lo
	s_wait_alu 0xfffe
	s_delay_alu instid0(VALU_DEP_2) | instskip(SKIP_1) | instid1(VALU_DEP_2)
	v_add_co_u32 v1, vcc_lo, v1, s8
	s_wait_alu 0xfffd
	v_add_co_ci_u32_e64 v2, null, s9, v2, vcc_lo
	global_load_b32 v6, v[1:2], off
	s_wait_loadcnt 0x0
	v_fma_f32 v6, s22, v6, v0
	global_store_b32 v[1:2], v6, off
.LBB12_20:
	s_cbranch_execz .LBB12_23
.LBB12_21:
	s_endpgm
.LBB12_22:
.LBB12_23:
	s_wait_alu 0xfffe
	s_and_b32 vcc_lo, exec_lo, s6
	s_mov_b32 s6, -1
	s_wait_alu 0xfffe
	s_cbranch_vccz .LBB12_25
; %bb.24:
	v_mad_co_u64_u32 v[1:2], null, s2, v4, 0
	s_lshl_b64 s[6:7], s[4:5], 2
	v_mad_co_u64_u32 v[6:7], null, s3, v4, v[2:3]
	v_lshlrev_b32_e32 v4, 2, v5
	s_delay_alu instid0(VALU_DEP_2) | instskip(NEXT) | instid1(VALU_DEP_1)
	v_mov_b32_e32 v2, v6
	v_lshlrev_b64_e32 v[1:2], 2, v[1:2]
	s_delay_alu instid0(VALU_DEP_1) | instskip(SKIP_1) | instid1(VALU_DEP_2)
	v_add_co_u32 v1, vcc_lo, s0, v1
	s_wait_alu 0xfffd
	v_add_co_ci_u32_e64 v2, null, s1, v2, vcc_lo
	s_delay_alu instid0(VALU_DEP_2) | instskip(SKIP_1) | instid1(VALU_DEP_2)
	v_add_co_u32 v1, vcc_lo, v1, v4
	s_wait_alu 0xfffd
	v_add_co_ci_u32_e64 v2, null, 0, v2, vcc_lo
	s_wait_alu 0xfffe
	s_delay_alu instid0(VALU_DEP_2) | instskip(SKIP_1) | instid1(VALU_DEP_2)
	v_add_co_u32 v1, vcc_lo, v1, s6
	s_wait_alu 0xfffd
	v_add_co_ci_u32_e64 v2, null, s7, v2, vcc_lo
	s_mov_b32 s6, 0
	global_store_b32 v[1:2], v0, off
.LBB12_25:
	s_wait_alu 0xfffe
	s_and_not1_b32 vcc_lo, exec_lo, s6
	s_wait_alu 0xfffe
	s_cbranch_vccnz .LBB12_21
; %bb.26:
	v_mad_co_u64_u32 v[1:2], null, s2, v5, 0
	s_delay_alu instid0(VALU_DEP_1) | instskip(NEXT) | instid1(VALU_DEP_1)
	v_mad_co_u64_u32 v[4:5], null, s3, v5, v[2:3]
	v_mov_b32_e32 v2, v4
	s_delay_alu instid0(VALU_DEP_1) | instskip(NEXT) | instid1(VALU_DEP_1)
	v_lshlrev_b64_e32 v[1:2], 2, v[1:2]
	v_add_co_u32 v1, vcc_lo, s0, v1
	s_wait_alu 0xfffd
	s_delay_alu instid0(VALU_DEP_2)
	v_add_co_ci_u32_e64 v2, null, s1, v2, vcc_lo
	s_lshl_b64 s[0:1], s[4:5], 2
	v_add_co_u32 v1, vcc_lo, v1, v3
	s_wait_alu 0xfffd
	v_add_co_ci_u32_e64 v2, null, 0, v2, vcc_lo
	s_wait_alu 0xfffe
	s_delay_alu instid0(VALU_DEP_2) | instskip(SKIP_1) | instid1(VALU_DEP_2)
	v_add_co_u32 v1, vcc_lo, v1, s0
	s_wait_alu 0xfffd
	v_add_co_ci_u32_e64 v2, null, s1, v2, vcc_lo
	global_store_b32 v[1:2], v0, off
	s_endpgm
	.section	.rodata,"a",@progbits
	.p2align	6, 0x0
	.amdhsa_kernel _ZN9rocsparse31csrmmnn_row_split_shared_kernelILj256ELj8EfiiDF16_DF16_fEEvNS_24const_host_device_scalarIT1_EES3_bbbT3_S4_llPKT2_PKS4_PKT4_PKT5_llPT6_ll16rocsparse_order_21rocsparse_index_base_
		.amdhsa_group_segment_fixed_size 2048
		.amdhsa_private_segment_fixed_size 0
		.amdhsa_kernarg_size 128
		.amdhsa_user_sgpr_count 2
		.amdhsa_user_sgpr_dispatch_ptr 0
		.amdhsa_user_sgpr_queue_ptr 0
		.amdhsa_user_sgpr_kernarg_segment_ptr 1
		.amdhsa_user_sgpr_dispatch_id 0
		.amdhsa_user_sgpr_private_segment_size 0
		.amdhsa_wavefront_size32 1
		.amdhsa_uses_dynamic_stack 0
		.amdhsa_enable_private_segment 0
		.amdhsa_system_sgpr_workgroup_id_x 1
		.amdhsa_system_sgpr_workgroup_id_y 1
		.amdhsa_system_sgpr_workgroup_id_z 1
		.amdhsa_system_sgpr_workgroup_info 0
		.amdhsa_system_vgpr_workitem_id 0
		.amdhsa_next_free_vgpr 29
		.amdhsa_next_free_sgpr 27
		.amdhsa_reserve_vcc 1
		.amdhsa_float_round_mode_32 0
		.amdhsa_float_round_mode_16_64 0
		.amdhsa_float_denorm_mode_32 3
		.amdhsa_float_denorm_mode_16_64 3
		.amdhsa_fp16_overflow 0
		.amdhsa_workgroup_processor_mode 1
		.amdhsa_memory_ordered 1
		.amdhsa_forward_progress 1
		.amdhsa_inst_pref_size 15
		.amdhsa_round_robin_scheduling 0
		.amdhsa_exception_fp_ieee_invalid_op 0
		.amdhsa_exception_fp_denorm_src 0
		.amdhsa_exception_fp_ieee_div_zero 0
		.amdhsa_exception_fp_ieee_overflow 0
		.amdhsa_exception_fp_ieee_underflow 0
		.amdhsa_exception_fp_ieee_inexact 0
		.amdhsa_exception_int_div_zero 0
	.end_amdhsa_kernel
	.section	.text._ZN9rocsparse31csrmmnn_row_split_shared_kernelILj256ELj8EfiiDF16_DF16_fEEvNS_24const_host_device_scalarIT1_EES3_bbbT3_S4_llPKT2_PKS4_PKT4_PKT5_llPT6_ll16rocsparse_order_21rocsparse_index_base_,"axG",@progbits,_ZN9rocsparse31csrmmnn_row_split_shared_kernelILj256ELj8EfiiDF16_DF16_fEEvNS_24const_host_device_scalarIT1_EES3_bbbT3_S4_llPKT2_PKS4_PKT4_PKT5_llPT6_ll16rocsparse_order_21rocsparse_index_base_,comdat
.Lfunc_end12:
	.size	_ZN9rocsparse31csrmmnn_row_split_shared_kernelILj256ELj8EfiiDF16_DF16_fEEvNS_24const_host_device_scalarIT1_EES3_bbbT3_S4_llPKT2_PKS4_PKT4_PKT5_llPT6_ll16rocsparse_order_21rocsparse_index_base_, .Lfunc_end12-_ZN9rocsparse31csrmmnn_row_split_shared_kernelILj256ELj8EfiiDF16_DF16_fEEvNS_24const_host_device_scalarIT1_EES3_bbbT3_S4_llPKT2_PKS4_PKT4_PKT5_llPT6_ll16rocsparse_order_21rocsparse_index_base_
                                        ; -- End function
	.set _ZN9rocsparse31csrmmnn_row_split_shared_kernelILj256ELj8EfiiDF16_DF16_fEEvNS_24const_host_device_scalarIT1_EES3_bbbT3_S4_llPKT2_PKS4_PKT4_PKT5_llPT6_ll16rocsparse_order_21rocsparse_index_base_.num_vgpr, 29
	.set _ZN9rocsparse31csrmmnn_row_split_shared_kernelILj256ELj8EfiiDF16_DF16_fEEvNS_24const_host_device_scalarIT1_EES3_bbbT3_S4_llPKT2_PKS4_PKT4_PKT5_llPT6_ll16rocsparse_order_21rocsparse_index_base_.num_agpr, 0
	.set _ZN9rocsparse31csrmmnn_row_split_shared_kernelILj256ELj8EfiiDF16_DF16_fEEvNS_24const_host_device_scalarIT1_EES3_bbbT3_S4_llPKT2_PKS4_PKT4_PKT5_llPT6_ll16rocsparse_order_21rocsparse_index_base_.numbered_sgpr, 27
	.set _ZN9rocsparse31csrmmnn_row_split_shared_kernelILj256ELj8EfiiDF16_DF16_fEEvNS_24const_host_device_scalarIT1_EES3_bbbT3_S4_llPKT2_PKS4_PKT4_PKT5_llPT6_ll16rocsparse_order_21rocsparse_index_base_.num_named_barrier, 0
	.set _ZN9rocsparse31csrmmnn_row_split_shared_kernelILj256ELj8EfiiDF16_DF16_fEEvNS_24const_host_device_scalarIT1_EES3_bbbT3_S4_llPKT2_PKS4_PKT4_PKT5_llPT6_ll16rocsparse_order_21rocsparse_index_base_.private_seg_size, 0
	.set _ZN9rocsparse31csrmmnn_row_split_shared_kernelILj256ELj8EfiiDF16_DF16_fEEvNS_24const_host_device_scalarIT1_EES3_bbbT3_S4_llPKT2_PKS4_PKT4_PKT5_llPT6_ll16rocsparse_order_21rocsparse_index_base_.uses_vcc, 1
	.set _ZN9rocsparse31csrmmnn_row_split_shared_kernelILj256ELj8EfiiDF16_DF16_fEEvNS_24const_host_device_scalarIT1_EES3_bbbT3_S4_llPKT2_PKS4_PKT4_PKT5_llPT6_ll16rocsparse_order_21rocsparse_index_base_.uses_flat_scratch, 0
	.set _ZN9rocsparse31csrmmnn_row_split_shared_kernelILj256ELj8EfiiDF16_DF16_fEEvNS_24const_host_device_scalarIT1_EES3_bbbT3_S4_llPKT2_PKS4_PKT4_PKT5_llPT6_ll16rocsparse_order_21rocsparse_index_base_.has_dyn_sized_stack, 0
	.set _ZN9rocsparse31csrmmnn_row_split_shared_kernelILj256ELj8EfiiDF16_DF16_fEEvNS_24const_host_device_scalarIT1_EES3_bbbT3_S4_llPKT2_PKS4_PKT4_PKT5_llPT6_ll16rocsparse_order_21rocsparse_index_base_.has_recursion, 0
	.set _ZN9rocsparse31csrmmnn_row_split_shared_kernelILj256ELj8EfiiDF16_DF16_fEEvNS_24const_host_device_scalarIT1_EES3_bbbT3_S4_llPKT2_PKS4_PKT4_PKT5_llPT6_ll16rocsparse_order_21rocsparse_index_base_.has_indirect_call, 0
	.section	.AMDGPU.csdata,"",@progbits
; Kernel info:
; codeLenInByte = 1880
; TotalNumSgprs: 29
; NumVgprs: 29
; ScratchSize: 0
; MemoryBound: 0
; FloatMode: 240
; IeeeMode: 1
; LDSByteSize: 2048 bytes/workgroup (compile time only)
; SGPRBlocks: 0
; VGPRBlocks: 3
; NumSGPRsForWavesPerEU: 29
; NumVGPRsForWavesPerEU: 29
; Occupancy: 16
; WaveLimiterHint : 1
; COMPUTE_PGM_RSRC2:SCRATCH_EN: 0
; COMPUTE_PGM_RSRC2:USER_SGPR: 2
; COMPUTE_PGM_RSRC2:TRAP_HANDLER: 0
; COMPUTE_PGM_RSRC2:TGID_X_EN: 1
; COMPUTE_PGM_RSRC2:TGID_Y_EN: 1
; COMPUTE_PGM_RSRC2:TGID_Z_EN: 1
; COMPUTE_PGM_RSRC2:TIDIG_COMP_CNT: 0
	.section	.text._ZN9rocsparse31csrmmnn_row_split_shared_kernelILj256ELj8EfliDF16_DF16_fEEvNS_24const_host_device_scalarIT1_EES3_bbbT3_S4_llPKT2_PKS4_PKT4_PKT5_llPT6_ll16rocsparse_order_21rocsparse_index_base_,"axG",@progbits,_ZN9rocsparse31csrmmnn_row_split_shared_kernelILj256ELj8EfliDF16_DF16_fEEvNS_24const_host_device_scalarIT1_EES3_bbbT3_S4_llPKT2_PKS4_PKT4_PKT5_llPT6_ll16rocsparse_order_21rocsparse_index_base_,comdat
	.protected	_ZN9rocsparse31csrmmnn_row_split_shared_kernelILj256ELj8EfliDF16_DF16_fEEvNS_24const_host_device_scalarIT1_EES3_bbbT3_S4_llPKT2_PKS4_PKT4_PKT5_llPT6_ll16rocsparse_order_21rocsparse_index_base_ ; -- Begin function _ZN9rocsparse31csrmmnn_row_split_shared_kernelILj256ELj8EfliDF16_DF16_fEEvNS_24const_host_device_scalarIT1_EES3_bbbT3_S4_llPKT2_PKS4_PKT4_PKT5_llPT6_ll16rocsparse_order_21rocsparse_index_base_
	.globl	_ZN9rocsparse31csrmmnn_row_split_shared_kernelILj256ELj8EfliDF16_DF16_fEEvNS_24const_host_device_scalarIT1_EES3_bbbT3_S4_llPKT2_PKS4_PKT4_PKT5_llPT6_ll16rocsparse_order_21rocsparse_index_base_
	.p2align	8
	.type	_ZN9rocsparse31csrmmnn_row_split_shared_kernelILj256ELj8EfliDF16_DF16_fEEvNS_24const_host_device_scalarIT1_EES3_bbbT3_S4_llPKT2_PKS4_PKT4_PKT5_llPT6_ll16rocsparse_order_21rocsparse_index_base_,@function
_ZN9rocsparse31csrmmnn_row_split_shared_kernelILj256ELj8EfliDF16_DF16_fEEvNS_24const_host_device_scalarIT1_EES3_bbbT3_S4_llPKT2_PKS4_PKT4_PKT5_llPT6_ll16rocsparse_order_21rocsparse_index_base_: ; @_ZN9rocsparse31csrmmnn_row_split_shared_kernelILj256ELj8EfliDF16_DF16_fEEvNS_24const_host_device_scalarIT1_EES3_bbbT3_S4_llPKT2_PKS4_PKT4_PKT5_llPT6_ll16rocsparse_order_21rocsparse_index_base_
; %bb.0:
	s_clause 0x1
	s_load_b96 s[24:26], s[0:1], 0x10
	s_load_b128 s[20:23], s[0:1], 0x0
	s_wait_kmcnt 0x0
	s_bitcmp1_b32 s24, 0
	s_cselect_b32 s2, -1, 0
	s_delay_alu instid0(SALU_CYCLE_1)
	s_and_b32 vcc_lo, exec_lo, s2
	s_xor_b32 s2, s2, -1
	s_cbranch_vccnz .LBB13_2
; %bb.1:
	s_load_b32 s20, s[20:21], 0x0
.LBB13_2:
	s_and_not1_b32 vcc_lo, exec_lo, s2
	s_cbranch_vccnz .LBB13_4
; %bb.3:
	s_load_b32 s22, s[22:23], 0x0
.LBB13_4:
	s_wait_kmcnt 0x0
	s_cmp_eq_f32 s20, 0
	s_cselect_b32 s2, -1, 0
	s_cmp_eq_f32 s22, 1.0
	s_cselect_b32 s3, -1, 0
	s_delay_alu instid0(SALU_CYCLE_1) | instskip(NEXT) | instid1(SALU_CYCLE_1)
	s_and_b32 s2, s2, s3
	s_and_b32 vcc_lo, exec_lo, s2
	s_cbranch_vccnz .LBB13_21
; %bb.5:
	v_lshl_or_b32 v1, ttmp9, 8, v0
	s_mov_b32 s2, exec_lo
	s_delay_alu instid0(VALU_DEP_1) | instskip(NEXT) | instid1(VALU_DEP_1)
	v_lshrrev_b32_e32 v9, 3, v1
	v_cmpx_gt_i32_e64 s25, v9
	s_cbranch_execz .LBB13_21
; %bb.6:
	s_load_b512 s[4:19], s[0:1], 0x20
	s_mov_b32 s25, 0
	s_lshr_b32 s24, ttmp7, 16
	v_dual_mov_b32 v12, 0 :: v_dual_lshlrev_b32 v1, 3, v9
	v_and_b32_e32 v11, 7, v0
	s_wait_kmcnt 0x0
	s_wait_alu 0xfffe
	s_mul_u64 s[2:3], s[4:5], s[24:25]
	s_load_b64 s[4:5], s[0:1], 0x78
	s_lshl_b64 s[2:3], s[2:3], 3
	s_delay_alu instid0(SALU_CYCLE_1) | instskip(SKIP_3) | instid1(SALU_CYCLE_1)
	s_add_nc_u64 s[2:3], s[8:9], s[2:3]
	s_mov_b32 s8, exec_lo
	global_load_b128 v[1:4], v1, s[2:3]
	s_and_b32 s2, ttmp7, 0xffff
	v_lshl_or_b32 v10, s2, 3, v11
	s_wait_loadcnt 0x0
	v_cmpx_lt_i64_e64 v[1:2], v[3:4]
	s_cbranch_execz .LBB13_14
; %bb.7:
	s_delay_alu instid0(VALU_DEP_2) | instskip(SKIP_4) | instid1(VALU_DEP_1)
	v_mad_co_u64_u32 v[5:6], null, s16, v10, 0
	v_lshlrev_b32_e32 v12, 2, v0
	v_mad_co_u64_u32 v[7:8], null, s6, s24, v[1:2]
	s_wait_kmcnt 0x0
	v_sub_co_u32 v3, vcc_lo, v3, s5
	v_subrev_co_ci_u32_e64 v4, null, 0, v4, vcc_lo
	v_dual_mov_b32 v0, v6 :: v_dual_and_b32 v13, 0x3e0, v12
	s_delay_alu instid0(VALU_DEP_4) | instskip(SKIP_1) | instid1(VALU_DEP_3)
	v_mad_co_u64_u32 v[16:17], null, s7, s24, v[8:9]
	v_add_co_u32 v7, s2, v7, v11
	v_mad_co_u64_u32 v[14:15], null, s17, v10, v[0:1]
	s_mul_u64 s[6:7], s[18:19], s[24:25]
	v_sub_co_u32 v0, vcc_lo, v1, s5
	v_add_co_ci_u32_e64 v8, null, 0, v16, s2
	v_sub_co_u32 v7, s2, v7, s5
	v_mov_b32_e32 v6, v14
	s_wait_alu 0xf1ff
	s_delay_alu instid0(VALU_DEP_3)
	v_subrev_co_ci_u32_e64 v8, null, 0, v8, s2
	s_wait_alu 0xfffd
	v_subrev_co_ci_u32_e64 v1, null, 0, v2, vcc_lo
	v_lshlrev_b64_e32 v[5:6], 1, v[5:6]
	v_dual_mov_b32 v12, 0 :: v_dual_lshlrev_b32 v15, 2, v11
	v_or_b32_e32 v2, 0x400, v13
	v_cmp_gt_i32_e32 vcc_lo, s26, v10
	s_delay_alu instid0(VALU_DEP_4)
	v_add_co_u32 v16, s2, s14, v5
	s_wait_alu 0xf1ff
	v_add_co_ci_u32_e64 v17, null, s15, v6, s2
	v_lshlrev_b64_e32 v[5:6], 2, v[7:8]
	s_wait_alu 0xfffe
	s_lshl_b64 s[2:3], s[6:7], 1
	v_lshlrev_b64_e32 v[7:8], 1, v[7:8]
	s_wait_alu 0xfffe
	v_add_co_u32 v16, s2, v16, s2
	s_wait_alu 0xf1ff
	v_add_co_ci_u32_e64 v17, null, s3, v17, s2
	v_add_co_u32 v5, s2, s10, v5
	s_wait_alu 0xf1ff
	v_add_co_ci_u32_e64 v6, null, s11, v6, s2
	v_add_co_u32 v7, s2, s12, v7
	v_or_b32_e32 v14, v13, v15
	v_or_b32_e32 v15, v2, v15
	s_wait_alu 0xf1ff
	v_add_co_ci_u32_e64 v8, null, s13, v8, s2
	s_mov_b32 s6, s25
	s_branch .LBB13_9
.LBB13_8:                               ;   in Loop: Header=BB13_9 Depth=1
	s_wait_alu 0xfffe
	s_or_b32 exec_lo, exec_lo, s3
	v_add_co_u32 v0, s2, v0, 8
	s_wait_alu 0xf1ff
	v_add_co_ci_u32_e64 v1, null, 0, v1, s2
	v_add_co_u32 v5, s2, v5, 32
	s_wait_alu 0xf1ff
	v_add_co_ci_u32_e64 v6, null, 0, v6, s2
	s_delay_alu instid0(VALU_DEP_3)
	v_cmp_ge_i64_e64 s2, v[0:1], v[3:4]
	v_add_co_u32 v7, s3, v7, 16
	s_wait_alu 0xf1ff
	v_add_co_ci_u32_e64 v8, null, 0, v8, s3
	s_or_b32 s6, s2, s6
	s_wait_alu 0xfffe
	s_and_not1_b32 exec_lo, exec_lo, s6
	s_cbranch_execz .LBB13_13
.LBB13_9:                               ; =>This Inner Loop Header: Depth=1
	v_add_co_u32 v18, s2, v11, v0
	s_wait_alu 0xf1ff
	v_add_co_ci_u32_e64 v19, null, 0, v1, s2
	s_barrier_signal -1
	s_barrier_wait -1
	s_delay_alu instid0(VALU_DEP_1)
	v_cmp_lt_i64_e64 s2, v[18:19], v[3:4]
	v_dual_mov_b32 v18, 0 :: v_dual_mov_b32 v19, 0
	global_inv scope:SCOPE_SE
	s_and_saveexec_b32 s3, s2
	s_cbranch_execz .LBB13_11
; %bb.10:                               ;   in Loop: Header=BB13_9 Depth=1
	global_load_b32 v18, v[5:6], off
	global_load_u16 v19, v[7:8], off
	s_wait_loadcnt 0x1
	v_subrev_nc_u32_e32 v18, s5, v18
	s_wait_loadcnt 0x0
	v_cvt_f32_f16_e32 v19, v19
.LBB13_11:                              ;   in Loop: Header=BB13_9 Depth=1
	s_wait_alu 0xfffe
	s_or_b32 exec_lo, exec_lo, s3
	ds_store_b32 v14, v18
	ds_store_b32 v15, v19
	s_wait_loadcnt_dscnt 0x0
	s_barrier_signal -1
	s_barrier_wait -1
	global_inv scope:SCOPE_SE
	s_and_saveexec_b32 s3, vcc_lo
	s_cbranch_execz .LBB13_8
; %bb.12:                               ;   in Loop: Header=BB13_9 Depth=1
	ds_load_b128 v[18:21], v13
	ds_load_b128 v[22:25], v13 offset:16
	s_wait_dscnt 0x1
	v_ashrrev_i32_e32 v27, 31, v18
	v_mov_b32_e32 v26, v18
	v_ashrrev_i32_e32 v29, 31, v19
	v_mov_b32_e32 v28, v19
	v_ashrrev_i32_e32 v19, 31, v20
	v_mov_b32_e32 v18, v20
	v_lshlrev_b64_e32 v[26:27], 1, v[26:27]
	v_ashrrev_i32_e32 v31, 31, v21
	v_mov_b32_e32 v30, v21
	v_lshlrev_b64_e32 v[28:29], 1, v[28:29]
	v_lshlrev_b64_e32 v[18:19], 1, v[18:19]
	s_wait_dscnt 0x0
	v_ashrrev_i32_e32 v21, 31, v22
	v_add_co_u32 v26, s2, v16, v26
	v_lshlrev_b64_e32 v[30:31], 1, v[30:31]
	s_wait_alu 0xf1ff
	v_add_co_ci_u32_e64 v27, null, v17, v27, s2
	v_add_co_u32 v28, s2, v16, v28
	s_wait_alu 0xf1ff
	v_add_co_ci_u32_e64 v29, null, v17, v29, s2
	v_add_co_u32 v18, s2, v16, v18
	s_wait_alu 0xf1ff
	v_add_co_ci_u32_e64 v19, null, v17, v19, s2
	v_add_co_u32 v30, s2, v16, v30
	v_mov_b32_e32 v20, v22
	s_wait_alu 0xf1ff
	v_add_co_ci_u32_e64 v31, null, v17, v31, s2
	v_ashrrev_i32_e32 v33, 31, v23
	v_mov_b32_e32 v32, v23
	s_clause 0x3
	global_load_u16 v27, v[26:27], off
	global_load_u16 v28, v[28:29], off
	;; [unrolled: 1-line block ×4, first 2 shown]
	v_lshlrev_b64_e32 v[20:21], 1, v[20:21]
	v_ashrrev_i32_e32 v23, 31, v24
	v_mov_b32_e32 v22, v24
	v_lshlrev_b64_e32 v[18:19], 1, v[32:33]
	v_ashrrev_i32_e32 v26, 31, v25
	v_add_co_u32 v20, s2, v16, v20
	s_wait_alu 0xf1ff
	v_add_co_ci_u32_e64 v21, null, v17, v21, s2
	s_delay_alu instid0(VALU_DEP_4)
	v_add_co_u32 v18, s2, v16, v18
	s_wait_alu 0xf1ff
	v_add_co_ci_u32_e64 v19, null, v17, v19, s2
	v_lshlrev_b64_e32 v[22:23], 1, v[22:23]
	s_clause 0x1
	global_load_u16 v31, v[20:21], off
	global_load_u16 v32, v[18:19], off
	v_lshlrev_b64_e32 v[18:19], 1, v[25:26]
	v_add_co_u32 v20, s2, v16, v22
	s_wait_alu 0xf1ff
	v_add_co_ci_u32_e64 v21, null, v17, v23, s2
	s_delay_alu instid0(VALU_DEP_3)
	v_add_co_u32 v18, s2, v16, v18
	s_wait_alu 0xf1ff
	v_add_co_ci_u32_e64 v19, null, v17, v19, s2
	s_clause 0x1
	global_load_u16 v26, v[20:21], off
	global_load_u16 v33, v[18:19], off
	ds_load_b128 v[18:21], v2
	ds_load_b128 v[22:25], v2 offset:16
	s_wait_loadcnt_dscnt 0x701
	v_fma_mix_f32 v12, v18, v27, v12 op_sel_hi:[0,1,0]
	s_wait_loadcnt 0x6
	s_delay_alu instid0(VALU_DEP_1) | instskip(SKIP_1) | instid1(VALU_DEP_1)
	v_fma_mix_f32 v12, v19, v28, v12 op_sel_hi:[0,1,0]
	s_wait_loadcnt 0x5
	v_fma_mix_f32 v12, v20, v29, v12 op_sel_hi:[0,1,0]
	s_wait_loadcnt 0x4
	s_delay_alu instid0(VALU_DEP_1) | instskip(SKIP_1) | instid1(VALU_DEP_1)
	v_fma_mix_f32 v12, v21, v30, v12 op_sel_hi:[0,1,0]
	s_wait_loadcnt_dscnt 0x300
	v_fma_mix_f32 v12, v22, v31, v12 op_sel_hi:[0,1,0]
	s_wait_loadcnt 0x2
	s_delay_alu instid0(VALU_DEP_1) | instskip(SKIP_1) | instid1(VALU_DEP_1)
	v_fma_mix_f32 v12, v23, v32, v12 op_sel_hi:[0,1,0]
	s_wait_loadcnt 0x1
	v_fma_mix_f32 v12, v24, v26, v12 op_sel_hi:[0,1,0]
	s_wait_loadcnt 0x0
	s_delay_alu instid0(VALU_DEP_1)
	v_fma_mix_f32 v12, v25, v33, v12 op_sel_hi:[0,1,0]
	s_branch .LBB13_8
.LBB13_13:
	s_or_b32 exec_lo, exec_lo, s6
.LBB13_14:
	s_delay_alu instid0(SALU_CYCLE_1)
	s_or_b32 exec_lo, exec_lo, s8
	v_cmp_gt_i32_e32 vcc_lo, s26, v10
	s_and_b32 exec_lo, exec_lo, vcc_lo
	s_cbranch_execz .LBB13_21
; %bb.15:
	s_clause 0x1
	s_load_b64 s[8:9], s[0:1], 0x70
	s_load_b128 s[0:3], s[0:1], 0x60
	s_wait_kmcnt 0x0
	s_cmp_lg_u32 s4, 1
	v_mul_f32_e32 v0, s20, v12
	s_cselect_b32 s6, -1, 0
	s_cmp_neq_f32 s22, 0
	s_mul_u64 s[4:5], s[8:9], s[24:25]
	s_cbranch_scc0 .LBB13_22
; %bb.16:
	s_wait_alu 0xfffe
	s_and_b32 vcc_lo, exec_lo, s6
	s_mov_b32 s7, -1
	s_wait_alu 0xfffe
	s_cbranch_vccz .LBB13_18
; %bb.17:
	v_mad_co_u64_u32 v[1:2], null, s2, v9, 0
	s_lshl_b64 s[8:9], s[4:5], 2
	s_mov_b32 s7, 0
	v_mad_co_u64_u32 v[2:3], null, s3, v9, v[2:3]
	v_lshlrev_b32_e32 v3, 2, v10
	s_delay_alu instid0(VALU_DEP_2) | instskip(NEXT) | instid1(VALU_DEP_1)
	v_lshlrev_b64_e32 v[1:2], 2, v[1:2]
	v_add_co_u32 v1, vcc_lo, s0, v1
	s_wait_alu 0xfffd
	s_delay_alu instid0(VALU_DEP_2) | instskip(NEXT) | instid1(VALU_DEP_2)
	v_add_co_ci_u32_e64 v2, null, s1, v2, vcc_lo
	v_add_co_u32 v1, vcc_lo, v1, v3
	s_wait_alu 0xfffd
	s_delay_alu instid0(VALU_DEP_2) | instskip(NEXT) | instid1(VALU_DEP_2)
	v_add_co_ci_u32_e64 v2, null, 0, v2, vcc_lo
	v_add_co_u32 v1, vcc_lo, v1, s8
	s_wait_alu 0xfffd
	s_delay_alu instid0(VALU_DEP_2)
	v_add_co_ci_u32_e64 v2, null, s9, v2, vcc_lo
	global_load_b32 v3, v[1:2], off
	s_wait_loadcnt 0x0
	v_fma_f32 v3, s22, v3, v0
	global_store_b32 v[1:2], v3, off
.LBB13_18:
	s_wait_alu 0xfffe
	s_and_not1_b32 vcc_lo, exec_lo, s7
	s_wait_alu 0xfffe
	s_cbranch_vccnz .LBB13_20
; %bb.19:
	v_mad_co_u64_u32 v[1:2], null, s2, v10, 0
	s_lshl_b64 s[8:9], s[4:5], 2
	v_mad_co_u64_u32 v[2:3], null, s3, v10, v[2:3]
	v_lshlrev_b32_e32 v3, 2, v9
	s_delay_alu instid0(VALU_DEP_2) | instskip(NEXT) | instid1(VALU_DEP_1)
	v_lshlrev_b64_e32 v[1:2], 2, v[1:2]
	v_add_co_u32 v1, vcc_lo, s0, v1
	s_wait_alu 0xfffd
	s_delay_alu instid0(VALU_DEP_2) | instskip(NEXT) | instid1(VALU_DEP_2)
	v_add_co_ci_u32_e64 v2, null, s1, v2, vcc_lo
	v_add_co_u32 v1, vcc_lo, v1, v3
	s_wait_alu 0xfffd
	s_delay_alu instid0(VALU_DEP_2) | instskip(SKIP_1) | instid1(VALU_DEP_2)
	v_add_co_ci_u32_e64 v2, null, 0, v2, vcc_lo
	s_wait_alu 0xfffe
	v_add_co_u32 v1, vcc_lo, v1, s8
	s_wait_alu 0xfffd
	s_delay_alu instid0(VALU_DEP_2)
	v_add_co_ci_u32_e64 v2, null, s9, v2, vcc_lo
	global_load_b32 v3, v[1:2], off
	s_wait_loadcnt 0x0
	v_fma_f32 v3, s22, v3, v0
	global_store_b32 v[1:2], v3, off
.LBB13_20:
	s_cbranch_execz .LBB13_23
.LBB13_21:
	s_endpgm
.LBB13_22:
.LBB13_23:
	s_wait_alu 0xfffe
	s_and_b32 vcc_lo, exec_lo, s6
	s_mov_b32 s6, -1
	s_wait_alu 0xfffe
	s_cbranch_vccz .LBB13_25
; %bb.24:
	v_mad_co_u64_u32 v[1:2], null, s2, v9, 0
	s_lshl_b64 s[6:7], s[4:5], 2
	v_mad_co_u64_u32 v[2:3], null, s3, v9, v[2:3]
	v_lshlrev_b32_e32 v3, 2, v10
	s_delay_alu instid0(VALU_DEP_2) | instskip(NEXT) | instid1(VALU_DEP_1)
	v_lshlrev_b64_e32 v[1:2], 2, v[1:2]
	v_add_co_u32 v1, vcc_lo, s0, v1
	s_wait_alu 0xfffd
	s_delay_alu instid0(VALU_DEP_2) | instskip(NEXT) | instid1(VALU_DEP_2)
	v_add_co_ci_u32_e64 v2, null, s1, v2, vcc_lo
	v_add_co_u32 v1, vcc_lo, v1, v3
	s_wait_alu 0xfffd
	s_delay_alu instid0(VALU_DEP_2) | instskip(SKIP_1) | instid1(VALU_DEP_2)
	v_add_co_ci_u32_e64 v2, null, 0, v2, vcc_lo
	s_wait_alu 0xfffe
	v_add_co_u32 v1, vcc_lo, v1, s6
	s_wait_alu 0xfffd
	s_delay_alu instid0(VALU_DEP_2)
	v_add_co_ci_u32_e64 v2, null, s7, v2, vcc_lo
	s_mov_b32 s6, 0
	global_store_b32 v[1:2], v0, off
.LBB13_25:
	s_wait_alu 0xfffe
	s_and_not1_b32 vcc_lo, exec_lo, s6
	s_wait_alu 0xfffe
	s_cbranch_vccnz .LBB13_21
; %bb.26:
	v_mad_co_u64_u32 v[1:2], null, s2, v10, 0
	s_delay_alu instid0(VALU_DEP_1) | instskip(SKIP_1) | instid1(VALU_DEP_2)
	v_mad_co_u64_u32 v[2:3], null, s3, v10, v[2:3]
	v_lshlrev_b32_e32 v3, 2, v9
	v_lshlrev_b64_e32 v[1:2], 2, v[1:2]
	s_delay_alu instid0(VALU_DEP_1) | instskip(SKIP_1) | instid1(VALU_DEP_2)
	v_add_co_u32 v1, vcc_lo, s0, v1
	s_wait_alu 0xfffd
	v_add_co_ci_u32_e64 v2, null, s1, v2, vcc_lo
	s_lshl_b64 s[0:1], s[4:5], 2
	v_add_co_u32 v1, vcc_lo, v1, v3
	s_wait_alu 0xfffd
	v_add_co_ci_u32_e64 v2, null, 0, v2, vcc_lo
	s_wait_alu 0xfffe
	s_delay_alu instid0(VALU_DEP_2) | instskip(SKIP_1) | instid1(VALU_DEP_2)
	v_add_co_u32 v1, vcc_lo, v1, s0
	s_wait_alu 0xfffd
	v_add_co_ci_u32_e64 v2, null, s1, v2, vcc_lo
	global_store_b32 v[1:2], v0, off
	s_endpgm
	.section	.rodata,"a",@progbits
	.p2align	6, 0x0
	.amdhsa_kernel _ZN9rocsparse31csrmmnn_row_split_shared_kernelILj256ELj8EfliDF16_DF16_fEEvNS_24const_host_device_scalarIT1_EES3_bbbT3_S4_llPKT2_PKS4_PKT4_PKT5_llPT6_ll16rocsparse_order_21rocsparse_index_base_
		.amdhsa_group_segment_fixed_size 2048
		.amdhsa_private_segment_fixed_size 0
		.amdhsa_kernarg_size 128
		.amdhsa_user_sgpr_count 2
		.amdhsa_user_sgpr_dispatch_ptr 0
		.amdhsa_user_sgpr_queue_ptr 0
		.amdhsa_user_sgpr_kernarg_segment_ptr 1
		.amdhsa_user_sgpr_dispatch_id 0
		.amdhsa_user_sgpr_private_segment_size 0
		.amdhsa_wavefront_size32 1
		.amdhsa_uses_dynamic_stack 0
		.amdhsa_enable_private_segment 0
		.amdhsa_system_sgpr_workgroup_id_x 1
		.amdhsa_system_sgpr_workgroup_id_y 1
		.amdhsa_system_sgpr_workgroup_id_z 1
		.amdhsa_system_sgpr_workgroup_info 0
		.amdhsa_system_vgpr_workitem_id 0
		.amdhsa_next_free_vgpr 34
		.amdhsa_next_free_sgpr 27
		.amdhsa_reserve_vcc 1
		.amdhsa_float_round_mode_32 0
		.amdhsa_float_round_mode_16_64 0
		.amdhsa_float_denorm_mode_32 3
		.amdhsa_float_denorm_mode_16_64 3
		.amdhsa_fp16_overflow 0
		.amdhsa_workgroup_processor_mode 1
		.amdhsa_memory_ordered 1
		.amdhsa_forward_progress 1
		.amdhsa_inst_pref_size 16
		.amdhsa_round_robin_scheduling 0
		.amdhsa_exception_fp_ieee_invalid_op 0
		.amdhsa_exception_fp_denorm_src 0
		.amdhsa_exception_fp_ieee_div_zero 0
		.amdhsa_exception_fp_ieee_overflow 0
		.amdhsa_exception_fp_ieee_underflow 0
		.amdhsa_exception_fp_ieee_inexact 0
		.amdhsa_exception_int_div_zero 0
	.end_amdhsa_kernel
	.section	.text._ZN9rocsparse31csrmmnn_row_split_shared_kernelILj256ELj8EfliDF16_DF16_fEEvNS_24const_host_device_scalarIT1_EES3_bbbT3_S4_llPKT2_PKS4_PKT4_PKT5_llPT6_ll16rocsparse_order_21rocsparse_index_base_,"axG",@progbits,_ZN9rocsparse31csrmmnn_row_split_shared_kernelILj256ELj8EfliDF16_DF16_fEEvNS_24const_host_device_scalarIT1_EES3_bbbT3_S4_llPKT2_PKS4_PKT4_PKT5_llPT6_ll16rocsparse_order_21rocsparse_index_base_,comdat
.Lfunc_end13:
	.size	_ZN9rocsparse31csrmmnn_row_split_shared_kernelILj256ELj8EfliDF16_DF16_fEEvNS_24const_host_device_scalarIT1_EES3_bbbT3_S4_llPKT2_PKS4_PKT4_PKT5_llPT6_ll16rocsparse_order_21rocsparse_index_base_, .Lfunc_end13-_ZN9rocsparse31csrmmnn_row_split_shared_kernelILj256ELj8EfliDF16_DF16_fEEvNS_24const_host_device_scalarIT1_EES3_bbbT3_S4_llPKT2_PKS4_PKT4_PKT5_llPT6_ll16rocsparse_order_21rocsparse_index_base_
                                        ; -- End function
	.set _ZN9rocsparse31csrmmnn_row_split_shared_kernelILj256ELj8EfliDF16_DF16_fEEvNS_24const_host_device_scalarIT1_EES3_bbbT3_S4_llPKT2_PKS4_PKT4_PKT5_llPT6_ll16rocsparse_order_21rocsparse_index_base_.num_vgpr, 34
	.set _ZN9rocsparse31csrmmnn_row_split_shared_kernelILj256ELj8EfliDF16_DF16_fEEvNS_24const_host_device_scalarIT1_EES3_bbbT3_S4_llPKT2_PKS4_PKT4_PKT5_llPT6_ll16rocsparse_order_21rocsparse_index_base_.num_agpr, 0
	.set _ZN9rocsparse31csrmmnn_row_split_shared_kernelILj256ELj8EfliDF16_DF16_fEEvNS_24const_host_device_scalarIT1_EES3_bbbT3_S4_llPKT2_PKS4_PKT4_PKT5_llPT6_ll16rocsparse_order_21rocsparse_index_base_.numbered_sgpr, 27
	.set _ZN9rocsparse31csrmmnn_row_split_shared_kernelILj256ELj8EfliDF16_DF16_fEEvNS_24const_host_device_scalarIT1_EES3_bbbT3_S4_llPKT2_PKS4_PKT4_PKT5_llPT6_ll16rocsparse_order_21rocsparse_index_base_.num_named_barrier, 0
	.set _ZN9rocsparse31csrmmnn_row_split_shared_kernelILj256ELj8EfliDF16_DF16_fEEvNS_24const_host_device_scalarIT1_EES3_bbbT3_S4_llPKT2_PKS4_PKT4_PKT5_llPT6_ll16rocsparse_order_21rocsparse_index_base_.private_seg_size, 0
	.set _ZN9rocsparse31csrmmnn_row_split_shared_kernelILj256ELj8EfliDF16_DF16_fEEvNS_24const_host_device_scalarIT1_EES3_bbbT3_S4_llPKT2_PKS4_PKT4_PKT5_llPT6_ll16rocsparse_order_21rocsparse_index_base_.uses_vcc, 1
	.set _ZN9rocsparse31csrmmnn_row_split_shared_kernelILj256ELj8EfliDF16_DF16_fEEvNS_24const_host_device_scalarIT1_EES3_bbbT3_S4_llPKT2_PKS4_PKT4_PKT5_llPT6_ll16rocsparse_order_21rocsparse_index_base_.uses_flat_scratch, 0
	.set _ZN9rocsparse31csrmmnn_row_split_shared_kernelILj256ELj8EfliDF16_DF16_fEEvNS_24const_host_device_scalarIT1_EES3_bbbT3_S4_llPKT2_PKS4_PKT4_PKT5_llPT6_ll16rocsparse_order_21rocsparse_index_base_.has_dyn_sized_stack, 0
	.set _ZN9rocsparse31csrmmnn_row_split_shared_kernelILj256ELj8EfliDF16_DF16_fEEvNS_24const_host_device_scalarIT1_EES3_bbbT3_S4_llPKT2_PKS4_PKT4_PKT5_llPT6_ll16rocsparse_order_21rocsparse_index_base_.has_recursion, 0
	.set _ZN9rocsparse31csrmmnn_row_split_shared_kernelILj256ELj8EfliDF16_DF16_fEEvNS_24const_host_device_scalarIT1_EES3_bbbT3_S4_llPKT2_PKS4_PKT4_PKT5_llPT6_ll16rocsparse_order_21rocsparse_index_base_.has_indirect_call, 0
	.section	.AMDGPU.csdata,"",@progbits
; Kernel info:
; codeLenInByte = 2004
; TotalNumSgprs: 29
; NumVgprs: 34
; ScratchSize: 0
; MemoryBound: 0
; FloatMode: 240
; IeeeMode: 1
; LDSByteSize: 2048 bytes/workgroup (compile time only)
; SGPRBlocks: 0
; VGPRBlocks: 4
; NumSGPRsForWavesPerEU: 29
; NumVGPRsForWavesPerEU: 34
; Occupancy: 16
; WaveLimiterHint : 1
; COMPUTE_PGM_RSRC2:SCRATCH_EN: 0
; COMPUTE_PGM_RSRC2:USER_SGPR: 2
; COMPUTE_PGM_RSRC2:TRAP_HANDLER: 0
; COMPUTE_PGM_RSRC2:TGID_X_EN: 1
; COMPUTE_PGM_RSRC2:TGID_Y_EN: 1
; COMPUTE_PGM_RSRC2:TGID_Z_EN: 1
; COMPUTE_PGM_RSRC2:TIDIG_COMP_CNT: 0
	.section	.text._ZN9rocsparse31csrmmnn_row_split_shared_kernelILj256ELj8EfllDF16_DF16_fEEvNS_24const_host_device_scalarIT1_EES3_bbbT3_S4_llPKT2_PKS4_PKT4_PKT5_llPT6_ll16rocsparse_order_21rocsparse_index_base_,"axG",@progbits,_ZN9rocsparse31csrmmnn_row_split_shared_kernelILj256ELj8EfllDF16_DF16_fEEvNS_24const_host_device_scalarIT1_EES3_bbbT3_S4_llPKT2_PKS4_PKT4_PKT5_llPT6_ll16rocsparse_order_21rocsparse_index_base_,comdat
	.protected	_ZN9rocsparse31csrmmnn_row_split_shared_kernelILj256ELj8EfllDF16_DF16_fEEvNS_24const_host_device_scalarIT1_EES3_bbbT3_S4_llPKT2_PKS4_PKT4_PKT5_llPT6_ll16rocsparse_order_21rocsparse_index_base_ ; -- Begin function _ZN9rocsparse31csrmmnn_row_split_shared_kernelILj256ELj8EfllDF16_DF16_fEEvNS_24const_host_device_scalarIT1_EES3_bbbT3_S4_llPKT2_PKS4_PKT4_PKT5_llPT6_ll16rocsparse_order_21rocsparse_index_base_
	.globl	_ZN9rocsparse31csrmmnn_row_split_shared_kernelILj256ELj8EfllDF16_DF16_fEEvNS_24const_host_device_scalarIT1_EES3_bbbT3_S4_llPKT2_PKS4_PKT4_PKT5_llPT6_ll16rocsparse_order_21rocsparse_index_base_
	.p2align	8
	.type	_ZN9rocsparse31csrmmnn_row_split_shared_kernelILj256ELj8EfllDF16_DF16_fEEvNS_24const_host_device_scalarIT1_EES3_bbbT3_S4_llPKT2_PKS4_PKT4_PKT5_llPT6_ll16rocsparse_order_21rocsparse_index_base_,@function
_ZN9rocsparse31csrmmnn_row_split_shared_kernelILj256ELj8EfllDF16_DF16_fEEvNS_24const_host_device_scalarIT1_EES3_bbbT3_S4_llPKT2_PKS4_PKT4_PKT5_llPT6_ll16rocsparse_order_21rocsparse_index_base_: ; @_ZN9rocsparse31csrmmnn_row_split_shared_kernelILj256ELj8EfllDF16_DF16_fEEvNS_24const_host_device_scalarIT1_EES3_bbbT3_S4_llPKT2_PKS4_PKT4_PKT5_llPT6_ll16rocsparse_order_21rocsparse_index_base_
; %bb.0:
	s_clause 0x1
	s_load_b32 s2, s[0:1], 0x10
	s_load_b128 s[28:31], s[0:1], 0x0
	s_wait_kmcnt 0x0
	s_bitcmp1_b32 s2, 0
	s_cselect_b32 s2, -1, 0
	s_delay_alu instid0(SALU_CYCLE_1)
	s_and_b32 vcc_lo, exec_lo, s2
	s_xor_b32 s2, s2, -1
	s_cbranch_vccnz .LBB14_2
; %bb.1:
	s_load_b32 s28, s[28:29], 0x0
.LBB14_2:
	s_and_not1_b32 vcc_lo, exec_lo, s2
	s_cbranch_vccnz .LBB14_4
; %bb.3:
	s_load_b32 s30, s[30:31], 0x0
.LBB14_4:
	s_wait_kmcnt 0x0
	s_cmp_eq_f32 s28, 0
	s_cselect_b32 s2, -1, 0
	s_cmp_eq_f32 s30, 1.0
	s_cselect_b32 s3, -1, 0
	s_delay_alu instid0(SALU_CYCLE_1) | instskip(NEXT) | instid1(SALU_CYCLE_1)
	s_and_b32 s2, s2, s3
	s_and_b32 vcc_lo, exec_lo, s2
	s_cbranch_vccnz .LBB14_21
; %bb.5:
	s_load_b512 s[4:19], s[0:1], 0x18
	v_lshl_or_b32 v1, ttmp9, 8, v0
	v_mov_b32_e32 v6, 0
	s_mov_b32 s2, exec_lo
	s_delay_alu instid0(VALU_DEP_2) | instskip(SKIP_1) | instid1(VALU_DEP_1)
	v_lshrrev_b32_e32 v5, 3, v1
	s_wait_kmcnt 0x0
	v_cmpx_gt_i64_e64 s[4:5], v[5:6]
	s_cbranch_execz .LBB14_21
; %bb.6:
	s_mov_b32 s3, 0
	s_lshr_b32 s2, ttmp7, 16
	v_dual_mov_b32 v8, v6 :: v_dual_lshlrev_b32 v1, 3, v5
	s_mul_u64 s[4:5], s[8:9], s[2:3]
	v_and_b32_e32 v15, 7, v0
	s_wait_alu 0xfffe
	s_lshl_b64 s[4:5], s[4:5], 3
	s_wait_alu 0xfffe
	s_add_nc_u64 s[4:5], s[12:13], s[4:5]
	global_load_b128 v[1:4], v1, s[4:5]
	s_clause 0x1
	s_load_b256 s[20:27], s[0:1], 0x58
	s_load_b128 s[36:39], s[0:1], 0x78
	s_and_b32 s0, ttmp7, 0xffff
	s_mov_b32 s4, exec_lo
	s_wait_alu 0xfffe
	v_lshl_or_b32 v7, s0, 3, v15
	s_wait_loadcnt 0x0
	v_cmpx_lt_i64_e64 v[1:2], v[3:4]
	s_cbranch_execz .LBB14_14
; %bb.7:
	s_wait_kmcnt 0x0
	v_mad_co_u64_u32 v[9:10], null, s20, v7, 0
	v_mad_co_u64_u32 v[11:12], null, s10, s2, v[1:2]
	v_sub_co_u32 v3, vcc_lo, v3, s39
	s_delay_alu instid0(VALU_DEP_1) | instskip(NEXT) | instid1(VALU_DEP_4)
	v_subrev_co_ci_u32_e64 v4, null, 0, v4, vcc_lo
	v_mov_b32_e32 v6, v10
	v_lshrrev_b32_e32 v10, 3, v0
	v_sub_co_u32 v0, vcc_lo, v1, s39
	s_wait_alu 0xfffd
	v_subrev_co_ci_u32_e64 v1, null, 0, v2, vcc_lo
	v_mad_co_u64_u32 v[13:14], null, s21, v7, v[6:7]
	v_lshlrev_b32_e32 v2, 6, v10
	v_lshl_or_b32 v16, v10, 5, 0x800
	v_add_co_u32 v11, s0, v11, v15
	s_mul_u64 s[8:9], s[22:23], s[2:3]
	v_mov_b32_e32 v6, 0
	v_mov_b32_e32 v10, v13
	v_mad_co_u64_u32 v[12:13], null, s11, s2, v[12:13]
	v_lshl_or_b32 v17, v15, 3, v2
	v_lshl_or_b32 v18, v15, 2, v16
	s_delay_alu instid0(VALU_DEP_4)
	v_lshlrev_b64_e32 v[9:10], 1, v[9:10]
	s_mov_b32 s5, s39
	v_cmp_gt_i64_e32 vcc_lo, s[6:7], v[7:8]
	v_add_co_ci_u32_e64 v12, null, 0, v12, s0
	v_sub_co_u32 v11, s0, v11, s39
	s_wait_alu 0xf1ff
	s_delay_alu instid0(VALU_DEP_2) | instskip(SKIP_3) | instid1(VALU_DEP_3)
	v_subrev_co_ci_u32_e64 v12, null, 0, v12, s0
	v_add_co_u32 v13, s0, s18, v9
	s_wait_alu 0xf1ff
	v_add_co_ci_u32_e64 v14, null, s19, v10, s0
	v_lshlrev_b64_e32 v[9:10], 3, v[11:12]
	s_lshl_b64 s[0:1], s[8:9], 1
	v_lshlrev_b64_e32 v[11:12], 1, v[11:12]
	s_wait_alu 0xfffe
	v_add_co_u32 v19, s0, v13, s0
	s_wait_alu 0xf1ff
	v_add_co_ci_u32_e64 v20, null, s1, v14, s0
	v_add_co_u32 v9, s0, s14, v9
	s_wait_alu 0xf1ff
	v_add_co_ci_u32_e64 v10, null, s15, v10, s0
	;; [unrolled: 3-line block ×3, first 2 shown]
	s_mov_b32 s8, s3
	s_branch .LBB14_9
.LBB14_8:                               ;   in Loop: Header=BB14_9 Depth=1
	s_wait_alu 0xfffe
	s_or_b32 exec_lo, exec_lo, s1
	v_add_co_u32 v0, s0, v0, 8
	s_wait_alu 0xf1ff
	v_add_co_ci_u32_e64 v1, null, 0, v1, s0
	v_add_co_u32 v9, s0, v9, 64
	s_wait_alu 0xf1ff
	v_add_co_ci_u32_e64 v10, null, 0, v10, s0
	s_delay_alu instid0(VALU_DEP_3) | instskip(SKIP_4) | instid1(SALU_CYCLE_1)
	v_cmp_ge_i64_e64 s0, v[0:1], v[3:4]
	v_add_co_u32 v11, s1, v11, 16
	s_wait_alu 0xf1ff
	v_add_co_ci_u32_e64 v12, null, 0, v12, s1
	s_or_b32 s8, s0, s8
	s_and_not1_b32 exec_lo, exec_lo, s8
	s_cbranch_execz .LBB14_13
.LBB14_9:                               ; =>This Inner Loop Header: Depth=1
	v_add_co_u32 v13, s0, v15, v0
	s_wait_alu 0xf1ff
	v_add_co_ci_u32_e64 v14, null, 0, v1, s0
	s_barrier_signal -1
	s_barrier_wait -1
	s_delay_alu instid0(VALU_DEP_1)
	v_cmp_lt_i64_e64 s0, v[13:14], v[3:4]
	v_mov_b32_e32 v13, 0
	v_dual_mov_b32 v14, 0 :: v_dual_mov_b32 v21, 0
	global_inv scope:SCOPE_SE
	s_and_saveexec_b32 s1, s0
	s_cbranch_execz .LBB14_11
; %bb.10:                               ;   in Loop: Header=BB14_9 Depth=1
	global_load_b64 v[13:14], v[9:10], off
	global_load_u16 v21, v[11:12], off
	s_wait_loadcnt 0x1
	v_sub_co_u32 v13, s0, v13, s5
	s_wait_alu 0xf1ff
	v_subrev_co_ci_u32_e64 v14, null, 0, v14, s0
	s_wait_loadcnt 0x0
	v_cvt_f32_f16_e32 v21, v21
.LBB14_11:                              ;   in Loop: Header=BB14_9 Depth=1
	s_wait_alu 0xfffe
	s_or_b32 exec_lo, exec_lo, s1
	ds_store_b64 v17, v[13:14]
	ds_store_b32 v18, v21
	s_wait_loadcnt_dscnt 0x0
	s_barrier_signal -1
	s_barrier_wait -1
	global_inv scope:SCOPE_SE
	s_and_saveexec_b32 s1, vcc_lo
	s_cbranch_execz .LBB14_8
; %bb.12:                               ;   in Loop: Header=BB14_9 Depth=1
	ds_load_b128 v[21:24], v2
	ds_load_b128 v[25:28], v2 offset:16
	ds_load_b128 v[29:32], v2 offset:32
	;; [unrolled: 1-line block ×3, first 2 shown]
	s_wait_dscnt 0x3
	v_lshlrev_b64_e32 v[13:14], 1, v[21:22]
	v_lshlrev_b64_e32 v[21:22], 1, v[23:24]
	s_wait_dscnt 0x2
	v_lshlrev_b64_e32 v[23:24], 1, v[25:26]
	v_lshlrev_b64_e32 v[25:26], 1, v[27:28]
	s_delay_alu instid0(VALU_DEP_4)
	v_add_co_u32 v13, s0, v19, v13
	s_wait_alu 0xf1ff
	v_add_co_ci_u32_e64 v14, null, v20, v14, s0
	v_add_co_u32 v21, s0, v19, v21
	s_wait_alu 0xf1ff
	v_add_co_ci_u32_e64 v22, null, v20, v22, s0
	v_add_co_u32 v23, s0, v19, v23
	global_load_u16 v37, v[13:14], off
	s_wait_alu 0xf1ff
	v_add_co_ci_u32_e64 v24, null, v20, v24, s0
	v_add_co_u32 v13, s0, v19, v25
	s_wait_alu 0xf1ff
	v_add_co_ci_u32_e64 v14, null, v20, v26, s0
	s_wait_dscnt 0x1
	v_lshlrev_b64_e32 v[25:26], 1, v[29:30]
	s_clause 0x2
	global_load_u16 v29, v[21:22], off
	global_load_u16 v30, v[23:24], off
	;; [unrolled: 1-line block ×3, first 2 shown]
	v_lshlrev_b64_e32 v[13:14], 1, v[31:32]
	s_wait_dscnt 0x0
	v_lshlrev_b64_e32 v[23:24], 1, v[33:34]
	v_add_co_u32 v21, s0, v19, v25
	s_wait_alu 0xf1ff
	v_add_co_ci_u32_e64 v22, null, v20, v26, s0
	v_add_co_u32 v13, s0, v19, v13
	s_wait_alu 0xf1ff
	v_add_co_ci_u32_e64 v14, null, v20, v14, s0
	s_clause 0x1
	global_load_u16 v31, v[21:22], off
	global_load_u16 v32, v[13:14], off
	v_lshlrev_b64_e32 v[13:14], 1, v[35:36]
	v_add_co_u32 v21, s0, v19, v23
	s_wait_alu 0xf1ff
	v_add_co_ci_u32_e64 v22, null, v20, v24, s0
	s_delay_alu instid0(VALU_DEP_3)
	v_add_co_u32 v13, s0, v19, v13
	s_wait_alu 0xf1ff
	v_add_co_ci_u32_e64 v14, null, v20, v14, s0
	s_clause 0x1
	global_load_u16 v33, v[21:22], off
	global_load_u16 v13, v[13:14], off
	ds_load_b128 v[21:24], v16
	ds_load_b128 v[25:28], v16 offset:16
	s_wait_loadcnt_dscnt 0x701
	v_fma_mix_f32 v6, v21, v37, v6 op_sel_hi:[0,1,0]
	s_wait_loadcnt 0x6
	s_delay_alu instid0(VALU_DEP_1) | instskip(SKIP_1) | instid1(VALU_DEP_1)
	v_fma_mix_f32 v6, v22, v29, v6 op_sel_hi:[0,1,0]
	s_wait_loadcnt 0x5
	v_fma_mix_f32 v6, v23, v30, v6 op_sel_hi:[0,1,0]
	s_wait_loadcnt 0x4
	s_delay_alu instid0(VALU_DEP_1) | instskip(SKIP_1) | instid1(VALU_DEP_1)
	v_fma_mix_f32 v6, v24, v38, v6 op_sel_hi:[0,1,0]
	s_wait_loadcnt_dscnt 0x300
	v_fma_mix_f32 v6, v25, v31, v6 op_sel_hi:[0,1,0]
	s_wait_loadcnt 0x2
	s_delay_alu instid0(VALU_DEP_1) | instskip(SKIP_1) | instid1(VALU_DEP_1)
	v_fma_mix_f32 v6, v26, v32, v6 op_sel_hi:[0,1,0]
	s_wait_loadcnt 0x1
	v_fma_mix_f32 v6, v27, v33, v6 op_sel_hi:[0,1,0]
	s_wait_loadcnt 0x0
	s_delay_alu instid0(VALU_DEP_1)
	v_fma_mix_f32 v6, v28, v13, v6 op_sel_hi:[0,1,0]
	s_branch .LBB14_8
.LBB14_13:
	s_or_b32 exec_lo, exec_lo, s8
.LBB14_14:
	s_delay_alu instid0(SALU_CYCLE_1)
	s_or_b32 exec_lo, exec_lo, s4
	v_cmp_gt_i64_e32 vcc_lo, s[6:7], v[7:8]
	s_and_b32 exec_lo, exec_lo, vcc_lo
	s_cbranch_execz .LBB14_21
; %bb.15:
	s_wait_kmcnt 0x0
	s_cmp_lg_u32 s38, 1
	v_mul_f32_e32 v0, s28, v6
	s_cselect_b32 s4, -1, 0
	s_cmp_neq_f32 s30, 0
	s_mul_u64 s[0:1], s[36:37], s[2:3]
	s_cbranch_scc0 .LBB14_22
; %bb.16:
	s_wait_alu 0xfffe
	s_and_b32 vcc_lo, exec_lo, s4
	s_mov_b32 s2, -1
	s_wait_alu 0xfffe
	s_cbranch_vccz .LBB14_18
; %bb.17:
	v_mad_co_u64_u32 v[1:2], null, s26, v5, 0
	s_lshl_b64 s[2:3], s[0:1], 2
	v_mad_co_u64_u32 v[2:3], null, s27, v5, v[2:3]
	v_lshlrev_b32_e32 v3, 2, v7
	s_delay_alu instid0(VALU_DEP_2) | instskip(NEXT) | instid1(VALU_DEP_1)
	v_lshlrev_b64_e32 v[1:2], 2, v[1:2]
	v_add_co_u32 v1, vcc_lo, s24, v1
	s_wait_alu 0xfffd
	s_delay_alu instid0(VALU_DEP_2) | instskip(NEXT) | instid1(VALU_DEP_2)
	v_add_co_ci_u32_e64 v2, null, s25, v2, vcc_lo
	v_add_co_u32 v1, vcc_lo, v1, v3
	s_wait_alu 0xfffd
	s_delay_alu instid0(VALU_DEP_2) | instskip(SKIP_1) | instid1(VALU_DEP_2)
	v_add_co_ci_u32_e64 v2, null, 0, v2, vcc_lo
	s_wait_alu 0xfffe
	v_add_co_u32 v1, vcc_lo, v1, s2
	s_wait_alu 0xfffd
	s_delay_alu instid0(VALU_DEP_2)
	v_add_co_ci_u32_e64 v2, null, s3, v2, vcc_lo
	s_mov_b32 s2, 0
	global_load_b32 v3, v[1:2], off
	s_wait_loadcnt 0x0
	v_fma_f32 v3, s30, v3, v0
	global_store_b32 v[1:2], v3, off
.LBB14_18:
	s_wait_alu 0xfffe
	s_and_not1_b32 vcc_lo, exec_lo, s2
	s_wait_alu 0xfffe
	s_cbranch_vccnz .LBB14_20
; %bb.19:
	v_mad_co_u64_u32 v[1:2], null, s26, v7, 0
	s_lshl_b64 s[2:3], s[0:1], 2
	v_mad_co_u64_u32 v[2:3], null, s27, v7, v[2:3]
	v_lshlrev_b32_e32 v3, 2, v5
	s_delay_alu instid0(VALU_DEP_2) | instskip(NEXT) | instid1(VALU_DEP_1)
	v_lshlrev_b64_e32 v[1:2], 2, v[1:2]
	v_add_co_u32 v1, vcc_lo, s24, v1
	s_wait_alu 0xfffd
	s_delay_alu instid0(VALU_DEP_2) | instskip(NEXT) | instid1(VALU_DEP_2)
	v_add_co_ci_u32_e64 v2, null, s25, v2, vcc_lo
	v_add_co_u32 v1, vcc_lo, v1, v3
	s_wait_alu 0xfffd
	s_delay_alu instid0(VALU_DEP_2) | instskip(SKIP_1) | instid1(VALU_DEP_2)
	v_add_co_ci_u32_e64 v2, null, 0, v2, vcc_lo
	s_wait_alu 0xfffe
	v_add_co_u32 v1, vcc_lo, v1, s2
	s_wait_alu 0xfffd
	s_delay_alu instid0(VALU_DEP_2)
	v_add_co_ci_u32_e64 v2, null, s3, v2, vcc_lo
	global_load_b32 v3, v[1:2], off
	s_wait_loadcnt 0x0
	v_fma_f32 v3, s30, v3, v0
	global_store_b32 v[1:2], v3, off
.LBB14_20:
	s_cbranch_execz .LBB14_23
.LBB14_21:
	s_endpgm
.LBB14_22:
.LBB14_23:
	s_wait_alu 0xfffe
	s_and_b32 vcc_lo, exec_lo, s4
	s_mov_b32 s2, -1
	s_wait_alu 0xfffe
	s_cbranch_vccz .LBB14_25
; %bb.24:
	v_mad_co_u64_u32 v[1:2], null, s26, v5, 0
	s_lshl_b64 s[2:3], s[0:1], 2
	v_mad_co_u64_u32 v[2:3], null, s27, v5, v[2:3]
	v_lshlrev_b32_e32 v3, 2, v7
	s_delay_alu instid0(VALU_DEP_2) | instskip(NEXT) | instid1(VALU_DEP_1)
	v_lshlrev_b64_e32 v[1:2], 2, v[1:2]
	v_add_co_u32 v1, vcc_lo, s24, v1
	s_wait_alu 0xfffd
	s_delay_alu instid0(VALU_DEP_2) | instskip(NEXT) | instid1(VALU_DEP_2)
	v_add_co_ci_u32_e64 v2, null, s25, v2, vcc_lo
	v_add_co_u32 v1, vcc_lo, v1, v3
	s_wait_alu 0xfffd
	s_delay_alu instid0(VALU_DEP_2) | instskip(SKIP_1) | instid1(VALU_DEP_2)
	v_add_co_ci_u32_e64 v2, null, 0, v2, vcc_lo
	s_wait_alu 0xfffe
	v_add_co_u32 v1, vcc_lo, v1, s2
	s_wait_alu 0xfffd
	s_delay_alu instid0(VALU_DEP_2)
	v_add_co_ci_u32_e64 v2, null, s3, v2, vcc_lo
	s_mov_b32 s2, 0
	global_store_b32 v[1:2], v0, off
.LBB14_25:
	s_wait_alu 0xfffe
	s_and_not1_b32 vcc_lo, exec_lo, s2
	s_wait_alu 0xfffe
	s_cbranch_vccnz .LBB14_21
; %bb.26:
	v_mad_co_u64_u32 v[1:2], null, s26, v7, 0
	s_lshl_b64 s[0:1], s[0:1], 2
	v_mad_co_u64_u32 v[2:3], null, s27, v7, v[2:3]
	v_lshlrev_b32_e32 v3, 2, v5
	s_delay_alu instid0(VALU_DEP_2) | instskip(NEXT) | instid1(VALU_DEP_1)
	v_lshlrev_b64_e32 v[1:2], 2, v[1:2]
	v_add_co_u32 v1, vcc_lo, s24, v1
	s_wait_alu 0xfffd
	s_delay_alu instid0(VALU_DEP_2) | instskip(NEXT) | instid1(VALU_DEP_2)
	v_add_co_ci_u32_e64 v2, null, s25, v2, vcc_lo
	v_add_co_u32 v1, vcc_lo, v1, v3
	s_wait_alu 0xfffd
	s_delay_alu instid0(VALU_DEP_2) | instskip(SKIP_1) | instid1(VALU_DEP_2)
	v_add_co_ci_u32_e64 v2, null, 0, v2, vcc_lo
	s_wait_alu 0xfffe
	v_add_co_u32 v1, vcc_lo, v1, s0
	s_wait_alu 0xfffd
	s_delay_alu instid0(VALU_DEP_2)
	v_add_co_ci_u32_e64 v2, null, s1, v2, vcc_lo
	global_store_b32 v[1:2], v0, off
	s_endpgm
	.section	.rodata,"a",@progbits
	.p2align	6, 0x0
	.amdhsa_kernel _ZN9rocsparse31csrmmnn_row_split_shared_kernelILj256ELj8EfllDF16_DF16_fEEvNS_24const_host_device_scalarIT1_EES3_bbbT3_S4_llPKT2_PKS4_PKT4_PKT5_llPT6_ll16rocsparse_order_21rocsparse_index_base_
		.amdhsa_group_segment_fixed_size 3072
		.amdhsa_private_segment_fixed_size 0
		.amdhsa_kernarg_size 136
		.amdhsa_user_sgpr_count 2
		.amdhsa_user_sgpr_dispatch_ptr 0
		.amdhsa_user_sgpr_queue_ptr 0
		.amdhsa_user_sgpr_kernarg_segment_ptr 1
		.amdhsa_user_sgpr_dispatch_id 0
		.amdhsa_user_sgpr_private_segment_size 0
		.amdhsa_wavefront_size32 1
		.amdhsa_uses_dynamic_stack 0
		.amdhsa_enable_private_segment 0
		.amdhsa_system_sgpr_workgroup_id_x 1
		.amdhsa_system_sgpr_workgroup_id_y 1
		.amdhsa_system_sgpr_workgroup_id_z 1
		.amdhsa_system_sgpr_workgroup_info 0
		.amdhsa_system_vgpr_workitem_id 0
		.amdhsa_next_free_vgpr 39
		.amdhsa_next_free_sgpr 40
		.amdhsa_reserve_vcc 1
		.amdhsa_float_round_mode_32 0
		.amdhsa_float_round_mode_16_64 0
		.amdhsa_float_denorm_mode_32 3
		.amdhsa_float_denorm_mode_16_64 3
		.amdhsa_fp16_overflow 0
		.amdhsa_workgroup_processor_mode 1
		.amdhsa_memory_ordered 1
		.amdhsa_forward_progress 1
		.amdhsa_inst_pref_size 16
		.amdhsa_round_robin_scheduling 0
		.amdhsa_exception_fp_ieee_invalid_op 0
		.amdhsa_exception_fp_denorm_src 0
		.amdhsa_exception_fp_ieee_div_zero 0
		.amdhsa_exception_fp_ieee_overflow 0
		.amdhsa_exception_fp_ieee_underflow 0
		.amdhsa_exception_fp_ieee_inexact 0
		.amdhsa_exception_int_div_zero 0
	.end_amdhsa_kernel
	.section	.text._ZN9rocsparse31csrmmnn_row_split_shared_kernelILj256ELj8EfllDF16_DF16_fEEvNS_24const_host_device_scalarIT1_EES3_bbbT3_S4_llPKT2_PKS4_PKT4_PKT5_llPT6_ll16rocsparse_order_21rocsparse_index_base_,"axG",@progbits,_ZN9rocsparse31csrmmnn_row_split_shared_kernelILj256ELj8EfllDF16_DF16_fEEvNS_24const_host_device_scalarIT1_EES3_bbbT3_S4_llPKT2_PKS4_PKT4_PKT5_llPT6_ll16rocsparse_order_21rocsparse_index_base_,comdat
.Lfunc_end14:
	.size	_ZN9rocsparse31csrmmnn_row_split_shared_kernelILj256ELj8EfllDF16_DF16_fEEvNS_24const_host_device_scalarIT1_EES3_bbbT3_S4_llPKT2_PKS4_PKT4_PKT5_llPT6_ll16rocsparse_order_21rocsparse_index_base_, .Lfunc_end14-_ZN9rocsparse31csrmmnn_row_split_shared_kernelILj256ELj8EfllDF16_DF16_fEEvNS_24const_host_device_scalarIT1_EES3_bbbT3_S4_llPKT2_PKS4_PKT4_PKT5_llPT6_ll16rocsparse_order_21rocsparse_index_base_
                                        ; -- End function
	.set _ZN9rocsparse31csrmmnn_row_split_shared_kernelILj256ELj8EfllDF16_DF16_fEEvNS_24const_host_device_scalarIT1_EES3_bbbT3_S4_llPKT2_PKS4_PKT4_PKT5_llPT6_ll16rocsparse_order_21rocsparse_index_base_.num_vgpr, 39
	.set _ZN9rocsparse31csrmmnn_row_split_shared_kernelILj256ELj8EfllDF16_DF16_fEEvNS_24const_host_device_scalarIT1_EES3_bbbT3_S4_llPKT2_PKS4_PKT4_PKT5_llPT6_ll16rocsparse_order_21rocsparse_index_base_.num_agpr, 0
	.set _ZN9rocsparse31csrmmnn_row_split_shared_kernelILj256ELj8EfllDF16_DF16_fEEvNS_24const_host_device_scalarIT1_EES3_bbbT3_S4_llPKT2_PKS4_PKT4_PKT5_llPT6_ll16rocsparse_order_21rocsparse_index_base_.numbered_sgpr, 40
	.set _ZN9rocsparse31csrmmnn_row_split_shared_kernelILj256ELj8EfllDF16_DF16_fEEvNS_24const_host_device_scalarIT1_EES3_bbbT3_S4_llPKT2_PKS4_PKT4_PKT5_llPT6_ll16rocsparse_order_21rocsparse_index_base_.num_named_barrier, 0
	.set _ZN9rocsparse31csrmmnn_row_split_shared_kernelILj256ELj8EfllDF16_DF16_fEEvNS_24const_host_device_scalarIT1_EES3_bbbT3_S4_llPKT2_PKS4_PKT4_PKT5_llPT6_ll16rocsparse_order_21rocsparse_index_base_.private_seg_size, 0
	.set _ZN9rocsparse31csrmmnn_row_split_shared_kernelILj256ELj8EfllDF16_DF16_fEEvNS_24const_host_device_scalarIT1_EES3_bbbT3_S4_llPKT2_PKS4_PKT4_PKT5_llPT6_ll16rocsparse_order_21rocsparse_index_base_.uses_vcc, 1
	.set _ZN9rocsparse31csrmmnn_row_split_shared_kernelILj256ELj8EfllDF16_DF16_fEEvNS_24const_host_device_scalarIT1_EES3_bbbT3_S4_llPKT2_PKS4_PKT4_PKT5_llPT6_ll16rocsparse_order_21rocsparse_index_base_.uses_flat_scratch, 0
	.set _ZN9rocsparse31csrmmnn_row_split_shared_kernelILj256ELj8EfllDF16_DF16_fEEvNS_24const_host_device_scalarIT1_EES3_bbbT3_S4_llPKT2_PKS4_PKT4_PKT5_llPT6_ll16rocsparse_order_21rocsparse_index_base_.has_dyn_sized_stack, 0
	.set _ZN9rocsparse31csrmmnn_row_split_shared_kernelILj256ELj8EfllDF16_DF16_fEEvNS_24const_host_device_scalarIT1_EES3_bbbT3_S4_llPKT2_PKS4_PKT4_PKT5_llPT6_ll16rocsparse_order_21rocsparse_index_base_.has_recursion, 0
	.set _ZN9rocsparse31csrmmnn_row_split_shared_kernelILj256ELj8EfllDF16_DF16_fEEvNS_24const_host_device_scalarIT1_EES3_bbbT3_S4_llPKT2_PKS4_PKT4_PKT5_llPT6_ll16rocsparse_order_21rocsparse_index_base_.has_indirect_call, 0
	.section	.AMDGPU.csdata,"",@progbits
; Kernel info:
; codeLenInByte = 1992
; TotalNumSgprs: 42
; NumVgprs: 39
; ScratchSize: 0
; MemoryBound: 1
; FloatMode: 240
; IeeeMode: 1
; LDSByteSize: 3072 bytes/workgroup (compile time only)
; SGPRBlocks: 0
; VGPRBlocks: 4
; NumSGPRsForWavesPerEU: 42
; NumVGPRsForWavesPerEU: 39
; Occupancy: 16
; WaveLimiterHint : 0
; COMPUTE_PGM_RSRC2:SCRATCH_EN: 0
; COMPUTE_PGM_RSRC2:USER_SGPR: 2
; COMPUTE_PGM_RSRC2:TRAP_HANDLER: 0
; COMPUTE_PGM_RSRC2:TGID_X_EN: 1
; COMPUTE_PGM_RSRC2:TGID_Y_EN: 1
; COMPUTE_PGM_RSRC2:TGID_Z_EN: 1
; COMPUTE_PGM_RSRC2:TIDIG_COMP_CNT: 0
	.section	.text._ZN9rocsparse31csrmmnn_row_split_shared_kernelILj256ELj8EiiiaaiEEvNS_24const_host_device_scalarIT1_EES3_bbbT3_S4_llPKT2_PKS4_PKT4_PKT5_llPT6_ll16rocsparse_order_21rocsparse_index_base_,"axG",@progbits,_ZN9rocsparse31csrmmnn_row_split_shared_kernelILj256ELj8EiiiaaiEEvNS_24const_host_device_scalarIT1_EES3_bbbT3_S4_llPKT2_PKS4_PKT4_PKT5_llPT6_ll16rocsparse_order_21rocsparse_index_base_,comdat
	.protected	_ZN9rocsparse31csrmmnn_row_split_shared_kernelILj256ELj8EiiiaaiEEvNS_24const_host_device_scalarIT1_EES3_bbbT3_S4_llPKT2_PKS4_PKT4_PKT5_llPT6_ll16rocsparse_order_21rocsparse_index_base_ ; -- Begin function _ZN9rocsparse31csrmmnn_row_split_shared_kernelILj256ELj8EiiiaaiEEvNS_24const_host_device_scalarIT1_EES3_bbbT3_S4_llPKT2_PKS4_PKT4_PKT5_llPT6_ll16rocsparse_order_21rocsparse_index_base_
	.globl	_ZN9rocsparse31csrmmnn_row_split_shared_kernelILj256ELj8EiiiaaiEEvNS_24const_host_device_scalarIT1_EES3_bbbT3_S4_llPKT2_PKS4_PKT4_PKT5_llPT6_ll16rocsparse_order_21rocsparse_index_base_
	.p2align	8
	.type	_ZN9rocsparse31csrmmnn_row_split_shared_kernelILj256ELj8EiiiaaiEEvNS_24const_host_device_scalarIT1_EES3_bbbT3_S4_llPKT2_PKS4_PKT4_PKT5_llPT6_ll16rocsparse_order_21rocsparse_index_base_,@function
_ZN9rocsparse31csrmmnn_row_split_shared_kernelILj256ELj8EiiiaaiEEvNS_24const_host_device_scalarIT1_EES3_bbbT3_S4_llPKT2_PKS4_PKT4_PKT5_llPT6_ll16rocsparse_order_21rocsparse_index_base_: ; @_ZN9rocsparse31csrmmnn_row_split_shared_kernelILj256ELj8EiiiaaiEEvNS_24const_host_device_scalarIT1_EES3_bbbT3_S4_llPKT2_PKS4_PKT4_PKT5_llPT6_ll16rocsparse_order_21rocsparse_index_base_
; %bb.0:
	s_clause 0x1
	s_load_b96 s[20:22], s[0:1], 0x10
	s_load_b128 s[4:7], s[0:1], 0x0
	s_mov_b32 s3, -1
                                        ; implicit-def: $sgpr24
	s_wait_kmcnt 0x0
	s_bitcmp1_b32 s20, 0
	s_cselect_b32 s2, -1, 0
	s_delay_alu instid0(SALU_CYCLE_1) | instskip(NEXT) | instid1(SALU_CYCLE_1)
	s_xor_b32 s2, s2, -1
	s_and_b32 vcc_lo, exec_lo, s2
	s_cbranch_vccnz .LBB15_4
; %bb.1:
	s_and_not1_b32 vcc_lo, exec_lo, s3
	s_cbranch_vccz .LBB15_5
.LBB15_2:
	s_and_b32 vcc_lo, exec_lo, s2
	s_cbranch_vccz .LBB15_6
.LBB15_3:
	s_load_b32 s23, s[6:7], 0x0
	s_cbranch_execz .LBB15_7
	s_branch .LBB15_8
.LBB15_4:
	s_load_b32 s24, s[4:5], 0x0
	s_cbranch_execnz .LBB15_2
.LBB15_5:
	s_wait_kmcnt 0x0
	s_mov_b32 s24, s4
	s_and_b32 vcc_lo, exec_lo, s2
	s_cbranch_vccnz .LBB15_3
.LBB15_6:
                                        ; implicit-def: $sgpr23
.LBB15_7:
	s_wait_kmcnt 0x0
	s_mov_b32 s23, s6
.LBB15_8:
	s_wait_kmcnt 0x0
	s_cmp_eq_u32 s24, 0
	s_cselect_b32 s2, -1, 0
	s_cmp_eq_u32 s23, 1
	s_cselect_b32 s3, -1, 0
	s_delay_alu instid0(SALU_CYCLE_1) | instskip(NEXT) | instid1(SALU_CYCLE_1)
	s_and_b32 s2, s2, s3
	s_and_b32 vcc_lo, exec_lo, s2
	s_cbranch_vccnz .LBB15_25
; %bb.9:
	v_lshl_or_b32 v1, ttmp9, 8, v0
	s_mov_b32 s2, exec_lo
	s_delay_alu instid0(VALU_DEP_1) | instskip(NEXT) | instid1(VALU_DEP_1)
	v_lshrrev_b32_e32 v6, 3, v1
	v_cmpx_gt_i32_e64 s21, v6
	s_cbranch_execz .LBB15_25
; %bb.10:
	s_load_b512 s[4:19], s[0:1], 0x20
	s_mov_b32 s21, 0
	s_lshr_b32 s20, ttmp7, 16
	v_dual_mov_b32 v2, 0 :: v_dual_lshlrev_b32 v5, 2, v6
	v_and_b32_e32 v8, 7, v0
	s_wait_kmcnt 0x0
	s_wait_alu 0xfffe
	s_mul_u64 s[2:3], s[4:5], s[20:21]
	s_load_b64 s[4:5], s[0:1], 0x78
	s_lshl_b64 s[2:3], s[2:3], 2
	s_delay_alu instid0(SALU_CYCLE_1)
	s_add_nc_u64 s[2:3], s[8:9], s[2:3]
	global_load_b64 v[3:4], v5, s[2:3]
	s_and_b32 s2, ttmp7, 0xffff
	s_mov_b32 s3, exec_lo
	v_lshl_or_b32 v7, s2, 3, v8
	s_wait_loadcnt 0x0
	v_cmpx_lt_i32_e64 v3, v4
	s_cbranch_execz .LBB15_18
; %bb.11:
	s_delay_alu instid0(VALU_DEP_2)
	v_mad_co_u64_u32 v[1:2], null, s16, v7, s[14:15]
	v_lshlrev_b32_e32 v0, 2, v0
	s_wait_kmcnt 0x0
	v_subrev_nc_u32_e32 v4, s5, v4
	s_mul_u64 s[6:7], s[6:7], s[20:21]
	s_mov_b32 s8, s21
	v_cmp_gt_i32_e32 vcc_lo, s22, v7
	v_and_b32_e32 v0, 0x3e0, v0
	v_mad_co_u64_u32 v[9:10], null, s17, v7, v[2:3]
	s_delay_alu instid0(VALU_DEP_1) | instskip(NEXT) | instid1(VALU_DEP_3)
	v_mov_b32_e32 v2, v9
	v_or_b32_e32 v9, 0x400, v0
	s_delay_alu instid0(VALU_DEP_2) | instskip(NEXT) | instid1(VALU_DEP_1)
	v_mad_co_u64_u32 v[1:2], null, s18, s20, v[1:2]
	v_mad_co_u64_u32 v[12:13], null, s19, s20, v[2:3]
	v_lshlrev_b32_e32 v2, 2, v8
	v_subrev_nc_u32_e32 v3, s5, v3
	s_delay_alu instid0(VALU_DEP_2)
	v_or_b32_e32 v10, v0, v2
	v_or_b32_e32 v11, v9, v2
	v_mov_b32_e32 v2, 0
	s_branch .LBB15_13
.LBB15_12:                              ;   in Loop: Header=BB15_13 Depth=1
	s_or_b32 exec_lo, exec_lo, s9
	v_add_nc_u32_e32 v3, 8, v3
	s_delay_alu instid0(VALU_DEP_1) | instskip(SKIP_1) | instid1(SALU_CYCLE_1)
	v_cmp_ge_i32_e64 s2, v3, v4
	s_or_b32 s8, s2, s8
	s_and_not1_b32 exec_lo, exec_lo, s8
	s_cbranch_execz .LBB15_17
.LBB15_13:                              ; =>This Inner Loop Header: Depth=1
	v_dual_mov_b32 v14, 0 :: v_dual_add_nc_u32 v13, v8, v3
	v_mov_b32_e32 v15, 0
	s_mov_b32 s9, exec_lo
	s_barrier_signal -1
	s_barrier_wait -1
	global_inv scope:SCOPE_SE
	v_cmpx_lt_i32_e64 v13, v4
	s_cbranch_execz .LBB15_15
; %bb.14:                               ;   in Loop: Header=BB15_13 Depth=1
	v_ashrrev_i32_e32 v14, 31, v13
	v_add_co_u32 v13, s2, s6, v13
	s_wait_alu 0xf1ff
	s_delay_alu instid0(VALU_DEP_2) | instskip(NEXT) | instid1(VALU_DEP_1)
	v_add_co_ci_u32_e64 v14, null, s7, v14, s2
	v_lshlrev_b64_e32 v[15:16], 2, v[13:14]
	s_delay_alu instid0(VALU_DEP_1) | instskip(SKIP_1) | instid1(VALU_DEP_2)
	v_add_co_u32 v15, s2, s10, v15
	s_wait_alu 0xf1ff
	v_add_co_ci_u32_e64 v16, null, s11, v16, s2
	v_add_co_u32 v13, s2, s12, v13
	s_wait_alu 0xf1ff
	v_add_co_ci_u32_e64 v14, null, s13, v14, s2
	global_load_b32 v16, v[15:16], off
	global_load_i8 v15, v[13:14], off
	s_wait_loadcnt 0x1
	v_subrev_nc_u32_e32 v14, s5, v16
.LBB15_15:                              ;   in Loop: Header=BB15_13 Depth=1
	s_or_b32 exec_lo, exec_lo, s9
	ds_store_b32 v10, v14
	s_wait_loadcnt 0x0
	ds_store_b32 v11, v15
	s_wait_dscnt 0x0
	s_barrier_signal -1
	s_barrier_wait -1
	global_inv scope:SCOPE_SE
	s_and_saveexec_b32 s9, vcc_lo
	s_cbranch_execz .LBB15_12
; %bb.16:                               ;   in Loop: Header=BB15_13 Depth=1
	ds_load_b128 v[13:16], v0
	ds_load_b128 v[17:20], v0 offset:16
	s_wait_dscnt 0x1
	v_ashrrev_i32_e32 v22, 31, v13
	v_ashrrev_i32_e32 v23, 31, v14
	v_add_co_u32 v21, s2, v1, v13
	v_ashrrev_i32_e32 v24, 31, v15
	s_wait_alu 0xf1ff
	v_add_co_ci_u32_e64 v22, null, v12, v22, s2
	v_add_co_u32 v13, s2, v1, v14
	v_ashrrev_i32_e32 v25, 31, v16
	s_wait_alu 0xf1ff
	v_add_co_ci_u32_e64 v14, null, v12, v23, s2
	v_add_co_u32 v23, s2, v1, v15
	s_wait_alu 0xf1ff
	v_add_co_ci_u32_e64 v24, null, v12, v24, s2
	v_add_co_u32 v15, s2, v1, v16
	s_wait_dscnt 0x0
	v_ashrrev_i32_e32 v26, 31, v17
	s_wait_alu 0xf1ff
	v_add_co_ci_u32_e64 v16, null, v12, v25, s2
	v_ashrrev_i32_e32 v25, 31, v18
	s_clause 0x3
	global_load_i8 v21, v[21:22], off
	global_load_i8 v22, v[13:14], off
	;; [unrolled: 1-line block ×4, first 2 shown]
	v_add_co_u32 v13, s2, v1, v17
	s_wait_alu 0xf1ff
	v_add_co_ci_u32_e64 v14, null, v12, v26, s2
	v_add_co_u32 v15, s2, v1, v18
	v_ashrrev_i32_e32 v18, 31, v19
	s_wait_alu 0xf1ff
	v_add_co_ci_u32_e64 v16, null, v12, v25, s2
	v_ashrrev_i32_e32 v25, 31, v20
	v_add_co_u32 v17, s2, v1, v19
	s_wait_alu 0xf1ff
	v_add_co_ci_u32_e64 v18, null, v12, v18, s2
	v_add_co_u32 v19, s2, v1, v20
	s_wait_alu 0xf1ff
	v_add_co_ci_u32_e64 v20, null, v12, v25, s2
	s_clause 0x3
	global_load_i8 v25, v[13:14], off
	global_load_i8 v26, v[15:16], off
	;; [unrolled: 1-line block ×4, first 2 shown]
	ds_load_b128 v[13:16], v9
	ds_load_b128 v[17:20], v9 offset:16
	s_wait_loadcnt_dscnt 0x701
	v_mul_lo_u32 v13, v13, v21
	s_wait_loadcnt 0x6
	v_mul_lo_u32 v14, v14, v22
	s_wait_loadcnt 0x5
	;; [unrolled: 2-line block ×3, first 2 shown]
	v_mul_lo_u32 v16, v16, v24
	s_delay_alu instid0(VALU_DEP_3) | instskip(NEXT) | instid1(VALU_DEP_1)
	v_add3_u32 v2, v13, v2, v14
	v_add3_u32 v2, v2, v15, v16
	s_wait_loadcnt_dscnt 0x300
	v_mul_lo_u32 v13, v17, v25
	s_wait_loadcnt 0x2
	v_mul_lo_u32 v14, v18, v26
	s_wait_loadcnt 0x1
	;; [unrolled: 2-line block ×3, first 2 shown]
	v_mul_lo_u32 v16, v20, v28
	s_delay_alu instid0(VALU_DEP_3) | instskip(NEXT) | instid1(VALU_DEP_1)
	v_add3_u32 v2, v2, v13, v14
	v_add3_u32 v2, v2, v15, v16
	s_branch .LBB15_12
.LBB15_17:
	s_or_b32 exec_lo, exec_lo, s8
.LBB15_18:
	s_delay_alu instid0(SALU_CYCLE_1)
	s_or_b32 exec_lo, exec_lo, s3
	v_cmp_gt_i32_e32 vcc_lo, s22, v7
	s_and_b32 exec_lo, exec_lo, vcc_lo
	s_cbranch_execz .LBB15_25
; %bb.19:
	s_clause 0x1
	s_load_b64 s[8:9], s[0:1], 0x70
	s_load_b128 s[0:3], s[0:1], 0x60
	v_mul_lo_u32 v0, v2, s24
	s_wait_kmcnt 0x0
	s_cmp_lg_u32 s4, 1
	s_cselect_b32 s6, -1, 0
	s_cmp_lg_u32 s23, 0
	s_mul_u64 s[4:5], s[8:9], s[20:21]
	s_cbranch_scc0 .LBB15_26
; %bb.20:
	s_wait_alu 0xfffe
	s_and_b32 vcc_lo, exec_lo, s6
	s_mov_b32 s7, -1
	s_cbranch_vccz .LBB15_22
; %bb.21:
	v_mad_co_u64_u32 v[1:2], null, s2, v6, 0
	s_lshl_b64 s[8:9], s[4:5], 2
	s_mov_b32 s7, 0
	v_mad_co_u64_u32 v[2:3], null, s3, v6, v[2:3]
	v_lshlrev_b32_e32 v3, 2, v7
	s_delay_alu instid0(VALU_DEP_2) | instskip(NEXT) | instid1(VALU_DEP_1)
	v_lshlrev_b64_e32 v[1:2], 2, v[1:2]
	v_add_co_u32 v1, vcc_lo, s0, v1
	s_delay_alu instid0(VALU_DEP_1) | instskip(NEXT) | instid1(VALU_DEP_2)
	v_add_co_ci_u32_e64 v2, null, s1, v2, vcc_lo
	v_add_co_u32 v1, vcc_lo, v1, v3
	s_wait_alu 0xfffd
	s_delay_alu instid0(VALU_DEP_2) | instskip(NEXT) | instid1(VALU_DEP_2)
	v_add_co_ci_u32_e64 v2, null, 0, v2, vcc_lo
	v_add_co_u32 v1, vcc_lo, v1, s8
	s_wait_alu 0xfffd
	s_delay_alu instid0(VALU_DEP_2)
	v_add_co_ci_u32_e64 v2, null, s9, v2, vcc_lo
	global_load_b32 v3, v[1:2], off
	s_wait_loadcnt 0x0
	v_mad_co_u64_u32 v[3:4], null, v3, s23, v[0:1]
	global_store_b32 v[1:2], v3, off
.LBB15_22:
	s_wait_alu 0xfffe
	s_and_not1_b32 vcc_lo, exec_lo, s7
	s_wait_alu 0xfffe
	s_cbranch_vccnz .LBB15_24
; %bb.23:
	v_mad_co_u64_u32 v[1:2], null, s2, v7, 0
	s_lshl_b64 s[8:9], s[4:5], 2
	v_mad_co_u64_u32 v[2:3], null, s3, v7, v[2:3]
	s_delay_alu instid0(VALU_DEP_1) | instskip(NEXT) | instid1(VALU_DEP_1)
	v_lshlrev_b64_e32 v[1:2], 2, v[1:2]
	v_add_co_u32 v1, vcc_lo, s0, v1
	s_wait_alu 0xfffd
	s_delay_alu instid0(VALU_DEP_2) | instskip(NEXT) | instid1(VALU_DEP_2)
	v_add_co_ci_u32_e64 v2, null, s1, v2, vcc_lo
	v_add_co_u32 v1, vcc_lo, v1, v5
	s_wait_alu 0xfffd
	s_delay_alu instid0(VALU_DEP_2) | instskip(SKIP_1) | instid1(VALU_DEP_2)
	v_add_co_ci_u32_e64 v2, null, 0, v2, vcc_lo
	s_wait_alu 0xfffe
	v_add_co_u32 v1, vcc_lo, v1, s8
	s_wait_alu 0xfffd
	s_delay_alu instid0(VALU_DEP_2)
	v_add_co_ci_u32_e64 v2, null, s9, v2, vcc_lo
	global_load_b32 v3, v[1:2], off
	s_wait_loadcnt 0x0
	v_mad_co_u64_u32 v[3:4], null, v3, s23, v[0:1]
	global_store_b32 v[1:2], v3, off
.LBB15_24:
	s_cbranch_execz .LBB15_27
.LBB15_25:
	s_endpgm
.LBB15_26:
.LBB15_27:
	s_wait_alu 0xfffe
	s_and_b32 vcc_lo, exec_lo, s6
	s_mov_b32 s6, -1
	s_wait_alu 0xfffe
	s_cbranch_vccz .LBB15_29
; %bb.28:
	v_mad_co_u64_u32 v[1:2], null, s2, v6, 0
	s_lshl_b64 s[6:7], s[4:5], 2
	v_mad_co_u64_u32 v[2:3], null, s3, v6, v[2:3]
	v_lshlrev_b32_e32 v3, 2, v7
	s_delay_alu instid0(VALU_DEP_2) | instskip(NEXT) | instid1(VALU_DEP_1)
	v_lshlrev_b64_e32 v[1:2], 2, v[1:2]
	v_add_co_u32 v1, vcc_lo, s0, v1
	s_wait_alu 0xfffd
	s_delay_alu instid0(VALU_DEP_2) | instskip(NEXT) | instid1(VALU_DEP_2)
	v_add_co_ci_u32_e64 v2, null, s1, v2, vcc_lo
	v_add_co_u32 v1, vcc_lo, v1, v3
	s_wait_alu 0xfffd
	s_delay_alu instid0(VALU_DEP_2) | instskip(SKIP_1) | instid1(VALU_DEP_2)
	v_add_co_ci_u32_e64 v2, null, 0, v2, vcc_lo
	s_wait_alu 0xfffe
	v_add_co_u32 v1, vcc_lo, v1, s6
	s_wait_alu 0xfffd
	s_delay_alu instid0(VALU_DEP_2)
	v_add_co_ci_u32_e64 v2, null, s7, v2, vcc_lo
	s_mov_b32 s6, 0
	global_store_b32 v[1:2], v0, off
.LBB15_29:
	s_wait_alu 0xfffe
	s_and_not1_b32 vcc_lo, exec_lo, s6
	s_wait_alu 0xfffe
	s_cbranch_vccnz .LBB15_25
; %bb.30:
	v_mad_co_u64_u32 v[1:2], null, s2, v7, 0
	s_delay_alu instid0(VALU_DEP_1) | instskip(NEXT) | instid1(VALU_DEP_1)
	v_mad_co_u64_u32 v[2:3], null, s3, v7, v[2:3]
	v_lshlrev_b64_e32 v[1:2], 2, v[1:2]
	s_delay_alu instid0(VALU_DEP_1) | instskip(SKIP_1) | instid1(VALU_DEP_2)
	v_add_co_u32 v1, vcc_lo, s0, v1
	s_wait_alu 0xfffd
	v_add_co_ci_u32_e64 v2, null, s1, v2, vcc_lo
	s_lshl_b64 s[0:1], s[4:5], 2
	v_add_co_u32 v1, vcc_lo, v1, v5
	s_wait_alu 0xfffd
	v_add_co_ci_u32_e64 v2, null, 0, v2, vcc_lo
	s_wait_alu 0xfffe
	s_delay_alu instid0(VALU_DEP_2) | instskip(SKIP_1) | instid1(VALU_DEP_2)
	v_add_co_u32 v1, vcc_lo, v1, s0
	s_wait_alu 0xfffd
	v_add_co_ci_u32_e64 v2, null, s1, v2, vcc_lo
	global_store_b32 v[1:2], v0, off
	s_endpgm
	.section	.rodata,"a",@progbits
	.p2align	6, 0x0
	.amdhsa_kernel _ZN9rocsparse31csrmmnn_row_split_shared_kernelILj256ELj8EiiiaaiEEvNS_24const_host_device_scalarIT1_EES3_bbbT3_S4_llPKT2_PKS4_PKT4_PKT5_llPT6_ll16rocsparse_order_21rocsparse_index_base_
		.amdhsa_group_segment_fixed_size 2048
		.amdhsa_private_segment_fixed_size 0
		.amdhsa_kernarg_size 128
		.amdhsa_user_sgpr_count 2
		.amdhsa_user_sgpr_dispatch_ptr 0
		.amdhsa_user_sgpr_queue_ptr 0
		.amdhsa_user_sgpr_kernarg_segment_ptr 1
		.amdhsa_user_sgpr_dispatch_id 0
		.amdhsa_user_sgpr_private_segment_size 0
		.amdhsa_wavefront_size32 1
		.amdhsa_uses_dynamic_stack 0
		.amdhsa_enable_private_segment 0
		.amdhsa_system_sgpr_workgroup_id_x 1
		.amdhsa_system_sgpr_workgroup_id_y 1
		.amdhsa_system_sgpr_workgroup_id_z 1
		.amdhsa_system_sgpr_workgroup_info 0
		.amdhsa_system_vgpr_workitem_id 0
		.amdhsa_next_free_vgpr 29
		.amdhsa_next_free_sgpr 25
		.amdhsa_reserve_vcc 1
		.amdhsa_float_round_mode_32 0
		.amdhsa_float_round_mode_16_64 0
		.amdhsa_float_denorm_mode_32 3
		.amdhsa_float_denorm_mode_16_64 3
		.amdhsa_fp16_overflow 0
		.amdhsa_workgroup_processor_mode 1
		.amdhsa_memory_ordered 1
		.amdhsa_forward_progress 1
		.amdhsa_inst_pref_size 15
		.amdhsa_round_robin_scheduling 0
		.amdhsa_exception_fp_ieee_invalid_op 0
		.amdhsa_exception_fp_denorm_src 0
		.amdhsa_exception_fp_ieee_div_zero 0
		.amdhsa_exception_fp_ieee_overflow 0
		.amdhsa_exception_fp_ieee_underflow 0
		.amdhsa_exception_fp_ieee_inexact 0
		.amdhsa_exception_int_div_zero 0
	.end_amdhsa_kernel
	.section	.text._ZN9rocsparse31csrmmnn_row_split_shared_kernelILj256ELj8EiiiaaiEEvNS_24const_host_device_scalarIT1_EES3_bbbT3_S4_llPKT2_PKS4_PKT4_PKT5_llPT6_ll16rocsparse_order_21rocsparse_index_base_,"axG",@progbits,_ZN9rocsparse31csrmmnn_row_split_shared_kernelILj256ELj8EiiiaaiEEvNS_24const_host_device_scalarIT1_EES3_bbbT3_S4_llPKT2_PKS4_PKT4_PKT5_llPT6_ll16rocsparse_order_21rocsparse_index_base_,comdat
.Lfunc_end15:
	.size	_ZN9rocsparse31csrmmnn_row_split_shared_kernelILj256ELj8EiiiaaiEEvNS_24const_host_device_scalarIT1_EES3_bbbT3_S4_llPKT2_PKS4_PKT4_PKT5_llPT6_ll16rocsparse_order_21rocsparse_index_base_, .Lfunc_end15-_ZN9rocsparse31csrmmnn_row_split_shared_kernelILj256ELj8EiiiaaiEEvNS_24const_host_device_scalarIT1_EES3_bbbT3_S4_llPKT2_PKS4_PKT4_PKT5_llPT6_ll16rocsparse_order_21rocsparse_index_base_
                                        ; -- End function
	.set _ZN9rocsparse31csrmmnn_row_split_shared_kernelILj256ELj8EiiiaaiEEvNS_24const_host_device_scalarIT1_EES3_bbbT3_S4_llPKT2_PKS4_PKT4_PKT5_llPT6_ll16rocsparse_order_21rocsparse_index_base_.num_vgpr, 29
	.set _ZN9rocsparse31csrmmnn_row_split_shared_kernelILj256ELj8EiiiaaiEEvNS_24const_host_device_scalarIT1_EES3_bbbT3_S4_llPKT2_PKS4_PKT4_PKT5_llPT6_ll16rocsparse_order_21rocsparse_index_base_.num_agpr, 0
	.set _ZN9rocsparse31csrmmnn_row_split_shared_kernelILj256ELj8EiiiaaiEEvNS_24const_host_device_scalarIT1_EES3_bbbT3_S4_llPKT2_PKS4_PKT4_PKT5_llPT6_ll16rocsparse_order_21rocsparse_index_base_.numbered_sgpr, 25
	.set _ZN9rocsparse31csrmmnn_row_split_shared_kernelILj256ELj8EiiiaaiEEvNS_24const_host_device_scalarIT1_EES3_bbbT3_S4_llPKT2_PKS4_PKT4_PKT5_llPT6_ll16rocsparse_order_21rocsparse_index_base_.num_named_barrier, 0
	.set _ZN9rocsparse31csrmmnn_row_split_shared_kernelILj256ELj8EiiiaaiEEvNS_24const_host_device_scalarIT1_EES3_bbbT3_S4_llPKT2_PKS4_PKT4_PKT5_llPT6_ll16rocsparse_order_21rocsparse_index_base_.private_seg_size, 0
	.set _ZN9rocsparse31csrmmnn_row_split_shared_kernelILj256ELj8EiiiaaiEEvNS_24const_host_device_scalarIT1_EES3_bbbT3_S4_llPKT2_PKS4_PKT4_PKT5_llPT6_ll16rocsparse_order_21rocsparse_index_base_.uses_vcc, 1
	.set _ZN9rocsparse31csrmmnn_row_split_shared_kernelILj256ELj8EiiiaaiEEvNS_24const_host_device_scalarIT1_EES3_bbbT3_S4_llPKT2_PKS4_PKT4_PKT5_llPT6_ll16rocsparse_order_21rocsparse_index_base_.uses_flat_scratch, 0
	.set _ZN9rocsparse31csrmmnn_row_split_shared_kernelILj256ELj8EiiiaaiEEvNS_24const_host_device_scalarIT1_EES3_bbbT3_S4_llPKT2_PKS4_PKT4_PKT5_llPT6_ll16rocsparse_order_21rocsparse_index_base_.has_dyn_sized_stack, 0
	.set _ZN9rocsparse31csrmmnn_row_split_shared_kernelILj256ELj8EiiiaaiEEvNS_24const_host_device_scalarIT1_EES3_bbbT3_S4_llPKT2_PKS4_PKT4_PKT5_llPT6_ll16rocsparse_order_21rocsparse_index_base_.has_recursion, 0
	.set _ZN9rocsparse31csrmmnn_row_split_shared_kernelILj256ELj8EiiiaaiEEvNS_24const_host_device_scalarIT1_EES3_bbbT3_S4_llPKT2_PKS4_PKT4_PKT5_llPT6_ll16rocsparse_order_21rocsparse_index_base_.has_indirect_call, 0
	.section	.AMDGPU.csdata,"",@progbits
; Kernel info:
; codeLenInByte = 1804
; TotalNumSgprs: 27
; NumVgprs: 29
; ScratchSize: 0
; MemoryBound: 0
; FloatMode: 240
; IeeeMode: 1
; LDSByteSize: 2048 bytes/workgroup (compile time only)
; SGPRBlocks: 0
; VGPRBlocks: 3
; NumSGPRsForWavesPerEU: 27
; NumVGPRsForWavesPerEU: 29
; Occupancy: 16
; WaveLimiterHint : 1
; COMPUTE_PGM_RSRC2:SCRATCH_EN: 0
; COMPUTE_PGM_RSRC2:USER_SGPR: 2
; COMPUTE_PGM_RSRC2:TRAP_HANDLER: 0
; COMPUTE_PGM_RSRC2:TGID_X_EN: 1
; COMPUTE_PGM_RSRC2:TGID_Y_EN: 1
; COMPUTE_PGM_RSRC2:TGID_Z_EN: 1
; COMPUTE_PGM_RSRC2:TIDIG_COMP_CNT: 0
	.section	.text._ZN9rocsparse31csrmmnn_row_split_shared_kernelILj256ELj8EiliaaiEEvNS_24const_host_device_scalarIT1_EES3_bbbT3_S4_llPKT2_PKS4_PKT4_PKT5_llPT6_ll16rocsparse_order_21rocsparse_index_base_,"axG",@progbits,_ZN9rocsparse31csrmmnn_row_split_shared_kernelILj256ELj8EiliaaiEEvNS_24const_host_device_scalarIT1_EES3_bbbT3_S4_llPKT2_PKS4_PKT4_PKT5_llPT6_ll16rocsparse_order_21rocsparse_index_base_,comdat
	.protected	_ZN9rocsparse31csrmmnn_row_split_shared_kernelILj256ELj8EiliaaiEEvNS_24const_host_device_scalarIT1_EES3_bbbT3_S4_llPKT2_PKS4_PKT4_PKT5_llPT6_ll16rocsparse_order_21rocsparse_index_base_ ; -- Begin function _ZN9rocsparse31csrmmnn_row_split_shared_kernelILj256ELj8EiliaaiEEvNS_24const_host_device_scalarIT1_EES3_bbbT3_S4_llPKT2_PKS4_PKT4_PKT5_llPT6_ll16rocsparse_order_21rocsparse_index_base_
	.globl	_ZN9rocsparse31csrmmnn_row_split_shared_kernelILj256ELj8EiliaaiEEvNS_24const_host_device_scalarIT1_EES3_bbbT3_S4_llPKT2_PKS4_PKT4_PKT5_llPT6_ll16rocsparse_order_21rocsparse_index_base_
	.p2align	8
	.type	_ZN9rocsparse31csrmmnn_row_split_shared_kernelILj256ELj8EiliaaiEEvNS_24const_host_device_scalarIT1_EES3_bbbT3_S4_llPKT2_PKS4_PKT4_PKT5_llPT6_ll16rocsparse_order_21rocsparse_index_base_,@function
_ZN9rocsparse31csrmmnn_row_split_shared_kernelILj256ELj8EiliaaiEEvNS_24const_host_device_scalarIT1_EES3_bbbT3_S4_llPKT2_PKS4_PKT4_PKT5_llPT6_ll16rocsparse_order_21rocsparse_index_base_: ; @_ZN9rocsparse31csrmmnn_row_split_shared_kernelILj256ELj8EiliaaiEEvNS_24const_host_device_scalarIT1_EES3_bbbT3_S4_llPKT2_PKS4_PKT4_PKT5_llPT6_ll16rocsparse_order_21rocsparse_index_base_
; %bb.0:
	s_clause 0x1
	s_load_b96 s[20:22], s[0:1], 0x10
	s_load_b128 s[4:7], s[0:1], 0x0
	s_mov_b32 s3, -1
                                        ; implicit-def: $sgpr24
	s_wait_kmcnt 0x0
	s_bitcmp1_b32 s20, 0
	s_cselect_b32 s2, -1, 0
	s_delay_alu instid0(SALU_CYCLE_1) | instskip(NEXT) | instid1(SALU_CYCLE_1)
	s_xor_b32 s2, s2, -1
	s_and_b32 vcc_lo, exec_lo, s2
	s_cbranch_vccnz .LBB16_4
; %bb.1:
	s_and_not1_b32 vcc_lo, exec_lo, s3
	s_cbranch_vccz .LBB16_5
.LBB16_2:
	s_and_b32 vcc_lo, exec_lo, s2
	s_cbranch_vccz .LBB16_6
.LBB16_3:
	s_load_b32 s23, s[6:7], 0x0
	s_cbranch_execz .LBB16_7
	s_branch .LBB16_8
.LBB16_4:
	s_load_b32 s24, s[4:5], 0x0
	s_cbranch_execnz .LBB16_2
.LBB16_5:
	s_wait_kmcnt 0x0
	s_mov_b32 s24, s4
	s_and_b32 vcc_lo, exec_lo, s2
	s_cbranch_vccnz .LBB16_3
.LBB16_6:
                                        ; implicit-def: $sgpr23
.LBB16_7:
	s_wait_kmcnt 0x0
	s_mov_b32 s23, s6
.LBB16_8:
	s_wait_kmcnt 0x0
	s_cmp_eq_u32 s24, 0
	s_cselect_b32 s2, -1, 0
	s_cmp_eq_u32 s23, 1
	s_cselect_b32 s3, -1, 0
	s_delay_alu instid0(SALU_CYCLE_1) | instskip(NEXT) | instid1(SALU_CYCLE_1)
	s_and_b32 s2, s2, s3
	s_and_b32 vcc_lo, exec_lo, s2
	s_cbranch_vccnz .LBB16_25
; %bb.9:
	v_lshl_or_b32 v1, ttmp9, 8, v0
	s_mov_b32 s2, exec_lo
	s_delay_alu instid0(VALU_DEP_1) | instskip(NEXT) | instid1(VALU_DEP_1)
	v_lshrrev_b32_e32 v8, 3, v1
	v_cmpx_gt_i32_e64 s21, v8
	s_cbranch_execz .LBB16_25
; %bb.10:
	s_load_b512 s[4:19], s[0:1], 0x20
	s_mov_b32 s21, 0
	s_lshr_b32 s20, ttmp7, 16
	v_lshlrev_b32_e32 v1, 3, v8
	v_dual_mov_b32 v11, 0 :: v_dual_and_b32 v10, 7, v0
	s_wait_kmcnt 0x0
	s_wait_alu 0xfffe
	s_mul_u64 s[2:3], s[4:5], s[20:21]
	s_load_b64 s[4:5], s[0:1], 0x78
	s_lshl_b64 s[2:3], s[2:3], 3
	s_delay_alu instid0(SALU_CYCLE_1) | instskip(SKIP_3) | instid1(SALU_CYCLE_1)
	s_add_nc_u64 s[2:3], s[8:9], s[2:3]
	s_mov_b32 s8, exec_lo
	global_load_b128 v[1:4], v1, s[2:3]
	s_and_b32 s2, ttmp7, 0xffff
	v_lshl_or_b32 v9, s2, 3, v10
	s_wait_loadcnt 0x0
	v_cmpx_lt_i64_e64 v[1:2], v[3:4]
	s_cbranch_execz .LBB16_18
; %bb.11:
	s_delay_alu instid0(VALU_DEP_2) | instskip(SKIP_3) | instid1(VALU_DEP_1)
	v_mad_co_u64_u32 v[5:6], null, s16, v9, s[14:15]
	v_mad_co_u64_u32 v[12:13], null, s6, s20, v[1:2]
	s_wait_kmcnt 0x0
	v_sub_co_u32 v3, vcc_lo, v3, s5
	v_subrev_co_ci_u32_e64 v4, null, 0, v4, vcc_lo
	s_delay_alu instid0(VALU_DEP_4) | instskip(NEXT) | instid1(VALU_DEP_4)
	v_mad_co_u64_u32 v[6:7], null, s17, v9, v[6:7]
	v_dual_mov_b32 v7, v13 :: v_dual_lshlrev_b32 v0, 2, v0
	v_sub_co_u32 v1, vcc_lo, v1, s5
	s_wait_alu 0xfffd
	v_subrev_co_ci_u32_e64 v2, null, 0, v2, vcc_lo
	s_delay_alu instid0(VALU_DEP_3)
	v_mad_co_u64_u32 v[13:14], null, s7, s20, v[7:8]
	v_add_co_u32 v12, vcc_lo, v12, v10
	v_mad_co_u64_u32 v[5:6], null, s18, s20, v[5:6]
	v_lshlrev_b32_e32 v7, 2, v10
	v_dual_mov_b32 v11, 0 :: v_dual_and_b32 v0, 0x3e0, v0
	s_wait_alu 0xfffd
	v_add_co_ci_u32_e64 v14, null, 0, v13, vcc_lo
	v_sub_co_u32 v13, vcc_lo, v12, s5
	v_mad_co_u64_u32 v[17:18], null, s19, s20, v[6:7]
	s_wait_alu 0xfffd
	s_delay_alu instid0(VALU_DEP_3) | instskip(SKIP_3) | instid1(VALU_DEP_3)
	v_subrev_co_ci_u32_e64 v14, null, 0, v14, vcc_lo
	v_or_b32_e32 v12, 0x400, v0
	s_mul_u64 s[2:3], s[6:7], s[20:21]
	v_cmp_gt_i32_e32 vcc_lo, s22, v9
	v_lshlrev_b64_e32 v[15:16], 2, v[13:14]
	s_wait_alu 0xfffe
	s_add_nc_u64 s[6:7], s[12:13], s[2:3]
	v_or_b32_e32 v13, v0, v7
	v_or_b32_e32 v14, v12, v7
	s_delay_alu instid0(VALU_DEP_3)
	v_add_co_u32 v6, s2, s10, v15
	s_wait_alu 0xf1ff
	v_add_co_ci_u32_e64 v7, null, s11, v16, s2
	s_wait_alu 0xfffe
	v_add_co_u32 v16, s2, s6, v10
	v_mov_b32_e32 v15, v17
	s_wait_alu 0xf1ff
	v_add_co_ci_u32_e64 v17, null, s7, 0, s2
	s_mov_b32 s6, s21
	s_branch .LBB16_13
.LBB16_12:                              ;   in Loop: Header=BB16_13 Depth=1
	s_wait_alu 0xfffe
	s_or_b32 exec_lo, exec_lo, s3
	v_add_co_u32 v1, s2, v1, 8
	s_wait_alu 0xf1ff
	v_add_co_ci_u32_e64 v2, null, 0, v2, s2
	v_add_co_u32 v6, s3, v6, 32
	s_wait_alu 0xf1ff
	v_add_co_ci_u32_e64 v7, null, 0, v7, s3
	s_delay_alu instid0(VALU_DEP_3)
	v_cmp_ge_i64_e64 s2, v[1:2], v[3:4]
	s_or_b32 s6, s2, s6
	s_wait_alu 0xfffe
	s_and_not1_b32 exec_lo, exec_lo, s6
	s_cbranch_execz .LBB16_17
.LBB16_13:                              ; =>This Inner Loop Header: Depth=1
	v_add_co_u32 v18, s2, v10, v1
	s_wait_alu 0xf1ff
	v_add_co_ci_u32_e64 v19, null, 0, v2, s2
	s_barrier_signal -1
	s_barrier_wait -1
	s_delay_alu instid0(VALU_DEP_1)
	v_cmp_lt_i64_e64 s2, v[18:19], v[3:4]
	v_dual_mov_b32 v19, 0 :: v_dual_mov_b32 v18, 0
	global_inv scope:SCOPE_SE
	s_and_saveexec_b32 s3, s2
	s_cbranch_execz .LBB16_15
; %bb.14:                               ;   in Loop: Header=BB16_13 Depth=1
	v_add_co_u32 v18, s2, v16, v1
	global_load_b32 v20, v[6:7], off
	s_wait_alu 0xf1ff
	v_add_co_ci_u32_e64 v19, null, v17, v2, s2
	global_load_i8 v18, v[18:19], off
	s_wait_loadcnt 0x1
	v_subrev_nc_u32_e32 v19, s5, v20
.LBB16_15:                              ;   in Loop: Header=BB16_13 Depth=1
	s_wait_alu 0xfffe
	s_or_b32 exec_lo, exec_lo, s3
	ds_store_b32 v13, v19
	s_wait_loadcnt 0x0
	ds_store_b32 v14, v18
	s_wait_dscnt 0x0
	s_barrier_signal -1
	s_barrier_wait -1
	global_inv scope:SCOPE_SE
	s_and_saveexec_b32 s3, vcc_lo
	s_cbranch_execz .LBB16_12
; %bb.16:                               ;   in Loop: Header=BB16_13 Depth=1
	ds_load_b128 v[18:21], v0
	ds_load_b128 v[22:25], v0 offset:16
	s_wait_dscnt 0x1
	v_ashrrev_i32_e32 v27, 31, v18
	v_ashrrev_i32_e32 v28, 31, v19
	v_add_co_u32 v26, s2, v5, v18
	v_ashrrev_i32_e32 v29, 31, v20
	s_wait_alu 0xf1ff
	v_add_co_ci_u32_e64 v27, null, v15, v27, s2
	v_add_co_u32 v18, s2, v5, v19
	v_ashrrev_i32_e32 v30, 31, v21
	s_wait_alu 0xf1ff
	v_add_co_ci_u32_e64 v19, null, v15, v28, s2
	v_add_co_u32 v28, s2, v5, v20
	s_wait_alu 0xf1ff
	v_add_co_ci_u32_e64 v29, null, v15, v29, s2
	v_add_co_u32 v20, s2, v5, v21
	s_wait_dscnt 0x0
	v_ashrrev_i32_e32 v31, 31, v22
	s_wait_alu 0xf1ff
	v_add_co_ci_u32_e64 v21, null, v15, v30, s2
	v_ashrrev_i32_e32 v30, 31, v23
	s_clause 0x3
	global_load_i8 v26, v[26:27], off
	global_load_i8 v27, v[18:19], off
	;; [unrolled: 1-line block ×4, first 2 shown]
	v_add_co_u32 v18, s2, v5, v22
	s_wait_alu 0xf1ff
	v_add_co_ci_u32_e64 v19, null, v15, v31, s2
	v_add_co_u32 v20, s2, v5, v23
	v_ashrrev_i32_e32 v23, 31, v24
	s_wait_alu 0xf1ff
	v_add_co_ci_u32_e64 v21, null, v15, v30, s2
	v_ashrrev_i32_e32 v30, 31, v25
	v_add_co_u32 v22, s2, v5, v24
	s_wait_alu 0xf1ff
	v_add_co_ci_u32_e64 v23, null, v15, v23, s2
	v_add_co_u32 v24, s2, v5, v25
	s_wait_alu 0xf1ff
	v_add_co_ci_u32_e64 v25, null, v15, v30, s2
	s_clause 0x3
	global_load_i8 v30, v[18:19], off
	global_load_i8 v31, v[20:21], off
	;; [unrolled: 1-line block ×4, first 2 shown]
	ds_load_b128 v[18:21], v12
	ds_load_b128 v[22:25], v12 offset:16
	s_wait_loadcnt_dscnt 0x701
	v_mul_lo_u32 v18, v18, v26
	s_wait_loadcnt 0x6
	v_mul_lo_u32 v19, v19, v27
	s_wait_loadcnt 0x5
	;; [unrolled: 2-line block ×3, first 2 shown]
	v_mul_lo_u32 v21, v21, v29
	s_delay_alu instid0(VALU_DEP_3) | instskip(NEXT) | instid1(VALU_DEP_1)
	v_add3_u32 v11, v18, v11, v19
	v_add3_u32 v11, v11, v20, v21
	s_wait_loadcnt_dscnt 0x300
	v_mul_lo_u32 v18, v22, v30
	s_wait_loadcnt 0x2
	v_mul_lo_u32 v19, v23, v31
	s_wait_loadcnt 0x1
	;; [unrolled: 2-line block ×3, first 2 shown]
	v_mul_lo_u32 v21, v25, v33
	s_delay_alu instid0(VALU_DEP_3) | instskip(NEXT) | instid1(VALU_DEP_1)
	v_add3_u32 v11, v11, v18, v19
	v_add3_u32 v11, v11, v20, v21
	s_branch .LBB16_12
.LBB16_17:
	s_or_b32 exec_lo, exec_lo, s6
.LBB16_18:
	s_delay_alu instid0(SALU_CYCLE_1)
	s_or_b32 exec_lo, exec_lo, s8
	v_cmp_gt_i32_e32 vcc_lo, s22, v9
	s_and_b32 exec_lo, exec_lo, vcc_lo
	s_cbranch_execz .LBB16_25
; %bb.19:
	s_clause 0x1
	s_load_b64 s[8:9], s[0:1], 0x70
	s_load_b128 s[0:3], s[0:1], 0x60
	v_mul_lo_u32 v0, v11, s24
	s_wait_kmcnt 0x0
	s_cmp_lg_u32 s4, 1
	s_cselect_b32 s6, -1, 0
	s_cmp_lg_u32 s23, 0
	s_mul_u64 s[4:5], s[8:9], s[20:21]
	s_cbranch_scc0 .LBB16_26
; %bb.20:
	s_wait_alu 0xfffe
	s_and_b32 vcc_lo, exec_lo, s6
	s_mov_b32 s7, -1
	s_wait_alu 0xfffe
	s_cbranch_vccz .LBB16_22
; %bb.21:
	v_mad_co_u64_u32 v[1:2], null, s2, v8, 0
	s_lshl_b64 s[8:9], s[4:5], 2
	s_mov_b32 s7, 0
	v_mad_co_u64_u32 v[2:3], null, s3, v8, v[2:3]
	v_lshlrev_b32_e32 v3, 2, v9
	s_delay_alu instid0(VALU_DEP_2) | instskip(NEXT) | instid1(VALU_DEP_1)
	v_lshlrev_b64_e32 v[1:2], 2, v[1:2]
	v_add_co_u32 v1, vcc_lo, s0, v1
	s_wait_alu 0xfffd
	s_delay_alu instid0(VALU_DEP_2) | instskip(NEXT) | instid1(VALU_DEP_2)
	v_add_co_ci_u32_e64 v2, null, s1, v2, vcc_lo
	v_add_co_u32 v1, vcc_lo, v1, v3
	s_wait_alu 0xfffd
	s_delay_alu instid0(VALU_DEP_2) | instskip(NEXT) | instid1(VALU_DEP_2)
	v_add_co_ci_u32_e64 v2, null, 0, v2, vcc_lo
	v_add_co_u32 v1, vcc_lo, v1, s8
	s_wait_alu 0xfffd
	s_delay_alu instid0(VALU_DEP_2)
	v_add_co_ci_u32_e64 v2, null, s9, v2, vcc_lo
	global_load_b32 v3, v[1:2], off
	s_wait_loadcnt 0x0
	v_mad_co_u64_u32 v[3:4], null, v3, s23, v[0:1]
	global_store_b32 v[1:2], v3, off
.LBB16_22:
	s_wait_alu 0xfffe
	s_and_not1_b32 vcc_lo, exec_lo, s7
	s_wait_alu 0xfffe
	s_cbranch_vccnz .LBB16_24
; %bb.23:
	v_mad_co_u64_u32 v[1:2], null, s2, v9, 0
	s_lshl_b64 s[8:9], s[4:5], 2
	v_mad_co_u64_u32 v[2:3], null, s3, v9, v[2:3]
	v_lshlrev_b32_e32 v3, 2, v8
	s_delay_alu instid0(VALU_DEP_2) | instskip(NEXT) | instid1(VALU_DEP_1)
	v_lshlrev_b64_e32 v[1:2], 2, v[1:2]
	v_add_co_u32 v1, vcc_lo, s0, v1
	s_wait_alu 0xfffd
	s_delay_alu instid0(VALU_DEP_2) | instskip(NEXT) | instid1(VALU_DEP_2)
	v_add_co_ci_u32_e64 v2, null, s1, v2, vcc_lo
	v_add_co_u32 v1, vcc_lo, v1, v3
	s_wait_alu 0xfffd
	s_delay_alu instid0(VALU_DEP_2) | instskip(SKIP_1) | instid1(VALU_DEP_2)
	v_add_co_ci_u32_e64 v2, null, 0, v2, vcc_lo
	s_wait_alu 0xfffe
	v_add_co_u32 v1, vcc_lo, v1, s8
	s_wait_alu 0xfffd
	s_delay_alu instid0(VALU_DEP_2)
	v_add_co_ci_u32_e64 v2, null, s9, v2, vcc_lo
	global_load_b32 v3, v[1:2], off
	s_wait_loadcnt 0x0
	v_mad_co_u64_u32 v[3:4], null, v3, s23, v[0:1]
	global_store_b32 v[1:2], v3, off
.LBB16_24:
	s_cbranch_execz .LBB16_27
.LBB16_25:
	s_endpgm
.LBB16_26:
.LBB16_27:
	s_wait_alu 0xfffe
	s_and_b32 vcc_lo, exec_lo, s6
	s_mov_b32 s6, -1
	s_wait_alu 0xfffe
	s_cbranch_vccz .LBB16_29
; %bb.28:
	v_mad_co_u64_u32 v[1:2], null, s2, v8, 0
	s_lshl_b64 s[6:7], s[4:5], 2
	v_mad_co_u64_u32 v[2:3], null, s3, v8, v[2:3]
	v_lshlrev_b32_e32 v3, 2, v9
	s_delay_alu instid0(VALU_DEP_2) | instskip(NEXT) | instid1(VALU_DEP_1)
	v_lshlrev_b64_e32 v[1:2], 2, v[1:2]
	v_add_co_u32 v1, vcc_lo, s0, v1
	s_wait_alu 0xfffd
	s_delay_alu instid0(VALU_DEP_2) | instskip(NEXT) | instid1(VALU_DEP_2)
	v_add_co_ci_u32_e64 v2, null, s1, v2, vcc_lo
	v_add_co_u32 v1, vcc_lo, v1, v3
	s_wait_alu 0xfffd
	s_delay_alu instid0(VALU_DEP_2) | instskip(SKIP_1) | instid1(VALU_DEP_2)
	v_add_co_ci_u32_e64 v2, null, 0, v2, vcc_lo
	s_wait_alu 0xfffe
	v_add_co_u32 v1, vcc_lo, v1, s6
	s_wait_alu 0xfffd
	s_delay_alu instid0(VALU_DEP_2)
	v_add_co_ci_u32_e64 v2, null, s7, v2, vcc_lo
	s_mov_b32 s6, 0
	global_store_b32 v[1:2], v0, off
.LBB16_29:
	s_wait_alu 0xfffe
	s_and_not1_b32 vcc_lo, exec_lo, s6
	s_wait_alu 0xfffe
	s_cbranch_vccnz .LBB16_25
; %bb.30:
	v_mad_co_u64_u32 v[1:2], null, s2, v9, 0
	s_delay_alu instid0(VALU_DEP_1) | instskip(SKIP_1) | instid1(VALU_DEP_2)
	v_mad_co_u64_u32 v[2:3], null, s3, v9, v[2:3]
	v_lshlrev_b32_e32 v3, 2, v8
	v_lshlrev_b64_e32 v[1:2], 2, v[1:2]
	s_delay_alu instid0(VALU_DEP_1) | instskip(SKIP_1) | instid1(VALU_DEP_2)
	v_add_co_u32 v1, vcc_lo, s0, v1
	s_wait_alu 0xfffd
	v_add_co_ci_u32_e64 v2, null, s1, v2, vcc_lo
	s_lshl_b64 s[0:1], s[4:5], 2
	v_add_co_u32 v1, vcc_lo, v1, v3
	s_wait_alu 0xfffd
	v_add_co_ci_u32_e64 v2, null, 0, v2, vcc_lo
	s_wait_alu 0xfffe
	s_delay_alu instid0(VALU_DEP_2) | instskip(SKIP_1) | instid1(VALU_DEP_2)
	v_add_co_u32 v1, vcc_lo, v1, s0
	s_wait_alu 0xfffd
	v_add_co_ci_u32_e64 v2, null, s1, v2, vcc_lo
	global_store_b32 v[1:2], v0, off
	s_endpgm
	.section	.rodata,"a",@progbits
	.p2align	6, 0x0
	.amdhsa_kernel _ZN9rocsparse31csrmmnn_row_split_shared_kernelILj256ELj8EiliaaiEEvNS_24const_host_device_scalarIT1_EES3_bbbT3_S4_llPKT2_PKS4_PKT4_PKT5_llPT6_ll16rocsparse_order_21rocsparse_index_base_
		.amdhsa_group_segment_fixed_size 2048
		.amdhsa_private_segment_fixed_size 0
		.amdhsa_kernarg_size 128
		.amdhsa_user_sgpr_count 2
		.amdhsa_user_sgpr_dispatch_ptr 0
		.amdhsa_user_sgpr_queue_ptr 0
		.amdhsa_user_sgpr_kernarg_segment_ptr 1
		.amdhsa_user_sgpr_dispatch_id 0
		.amdhsa_user_sgpr_private_segment_size 0
		.amdhsa_wavefront_size32 1
		.amdhsa_uses_dynamic_stack 0
		.amdhsa_enable_private_segment 0
		.amdhsa_system_sgpr_workgroup_id_x 1
		.amdhsa_system_sgpr_workgroup_id_y 1
		.amdhsa_system_sgpr_workgroup_id_z 1
		.amdhsa_system_sgpr_workgroup_info 0
		.amdhsa_system_vgpr_workitem_id 0
		.amdhsa_next_free_vgpr 34
		.amdhsa_next_free_sgpr 25
		.amdhsa_reserve_vcc 1
		.amdhsa_float_round_mode_32 0
		.amdhsa_float_round_mode_16_64 0
		.amdhsa_float_denorm_mode_32 3
		.amdhsa_float_denorm_mode_16_64 3
		.amdhsa_fp16_overflow 0
		.amdhsa_workgroup_processor_mode 1
		.amdhsa_memory_ordered 1
		.amdhsa_forward_progress 1
		.amdhsa_inst_pref_size 16
		.amdhsa_round_robin_scheduling 0
		.amdhsa_exception_fp_ieee_invalid_op 0
		.amdhsa_exception_fp_denorm_src 0
		.amdhsa_exception_fp_ieee_div_zero 0
		.amdhsa_exception_fp_ieee_overflow 0
		.amdhsa_exception_fp_ieee_underflow 0
		.amdhsa_exception_fp_ieee_inexact 0
		.amdhsa_exception_int_div_zero 0
	.end_amdhsa_kernel
	.section	.text._ZN9rocsparse31csrmmnn_row_split_shared_kernelILj256ELj8EiliaaiEEvNS_24const_host_device_scalarIT1_EES3_bbbT3_S4_llPKT2_PKS4_PKT4_PKT5_llPT6_ll16rocsparse_order_21rocsparse_index_base_,"axG",@progbits,_ZN9rocsparse31csrmmnn_row_split_shared_kernelILj256ELj8EiliaaiEEvNS_24const_host_device_scalarIT1_EES3_bbbT3_S4_llPKT2_PKS4_PKT4_PKT5_llPT6_ll16rocsparse_order_21rocsparse_index_base_,comdat
.Lfunc_end16:
	.size	_ZN9rocsparse31csrmmnn_row_split_shared_kernelILj256ELj8EiliaaiEEvNS_24const_host_device_scalarIT1_EES3_bbbT3_S4_llPKT2_PKS4_PKT4_PKT5_llPT6_ll16rocsparse_order_21rocsparse_index_base_, .Lfunc_end16-_ZN9rocsparse31csrmmnn_row_split_shared_kernelILj256ELj8EiliaaiEEvNS_24const_host_device_scalarIT1_EES3_bbbT3_S4_llPKT2_PKS4_PKT4_PKT5_llPT6_ll16rocsparse_order_21rocsparse_index_base_
                                        ; -- End function
	.set _ZN9rocsparse31csrmmnn_row_split_shared_kernelILj256ELj8EiliaaiEEvNS_24const_host_device_scalarIT1_EES3_bbbT3_S4_llPKT2_PKS4_PKT4_PKT5_llPT6_ll16rocsparse_order_21rocsparse_index_base_.num_vgpr, 34
	.set _ZN9rocsparse31csrmmnn_row_split_shared_kernelILj256ELj8EiliaaiEEvNS_24const_host_device_scalarIT1_EES3_bbbT3_S4_llPKT2_PKS4_PKT4_PKT5_llPT6_ll16rocsparse_order_21rocsparse_index_base_.num_agpr, 0
	.set _ZN9rocsparse31csrmmnn_row_split_shared_kernelILj256ELj8EiliaaiEEvNS_24const_host_device_scalarIT1_EES3_bbbT3_S4_llPKT2_PKS4_PKT4_PKT5_llPT6_ll16rocsparse_order_21rocsparse_index_base_.numbered_sgpr, 25
	.set _ZN9rocsparse31csrmmnn_row_split_shared_kernelILj256ELj8EiliaaiEEvNS_24const_host_device_scalarIT1_EES3_bbbT3_S4_llPKT2_PKS4_PKT4_PKT5_llPT6_ll16rocsparse_order_21rocsparse_index_base_.num_named_barrier, 0
	.set _ZN9rocsparse31csrmmnn_row_split_shared_kernelILj256ELj8EiliaaiEEvNS_24const_host_device_scalarIT1_EES3_bbbT3_S4_llPKT2_PKS4_PKT4_PKT5_llPT6_ll16rocsparse_order_21rocsparse_index_base_.private_seg_size, 0
	.set _ZN9rocsparse31csrmmnn_row_split_shared_kernelILj256ELj8EiliaaiEEvNS_24const_host_device_scalarIT1_EES3_bbbT3_S4_llPKT2_PKS4_PKT4_PKT5_llPT6_ll16rocsparse_order_21rocsparse_index_base_.uses_vcc, 1
	.set _ZN9rocsparse31csrmmnn_row_split_shared_kernelILj256ELj8EiliaaiEEvNS_24const_host_device_scalarIT1_EES3_bbbT3_S4_llPKT2_PKS4_PKT4_PKT5_llPT6_ll16rocsparse_order_21rocsparse_index_base_.uses_flat_scratch, 0
	.set _ZN9rocsparse31csrmmnn_row_split_shared_kernelILj256ELj8EiliaaiEEvNS_24const_host_device_scalarIT1_EES3_bbbT3_S4_llPKT2_PKS4_PKT4_PKT5_llPT6_ll16rocsparse_order_21rocsparse_index_base_.has_dyn_sized_stack, 0
	.set _ZN9rocsparse31csrmmnn_row_split_shared_kernelILj256ELj8EiliaaiEEvNS_24const_host_device_scalarIT1_EES3_bbbT3_S4_llPKT2_PKS4_PKT4_PKT5_llPT6_ll16rocsparse_order_21rocsparse_index_base_.has_recursion, 0
	.set _ZN9rocsparse31csrmmnn_row_split_shared_kernelILj256ELj8EiliaaiEEvNS_24const_host_device_scalarIT1_EES3_bbbT3_S4_llPKT2_PKS4_PKT4_PKT5_llPT6_ll16rocsparse_order_21rocsparse_index_base_.has_indirect_call, 0
	.section	.AMDGPU.csdata,"",@progbits
; Kernel info:
; codeLenInByte = 1980
; TotalNumSgprs: 27
; NumVgprs: 34
; ScratchSize: 0
; MemoryBound: 0
; FloatMode: 240
; IeeeMode: 1
; LDSByteSize: 2048 bytes/workgroup (compile time only)
; SGPRBlocks: 0
; VGPRBlocks: 4
; NumSGPRsForWavesPerEU: 27
; NumVGPRsForWavesPerEU: 34
; Occupancy: 16
; WaveLimiterHint : 1
; COMPUTE_PGM_RSRC2:SCRATCH_EN: 0
; COMPUTE_PGM_RSRC2:USER_SGPR: 2
; COMPUTE_PGM_RSRC2:TRAP_HANDLER: 0
; COMPUTE_PGM_RSRC2:TGID_X_EN: 1
; COMPUTE_PGM_RSRC2:TGID_Y_EN: 1
; COMPUTE_PGM_RSRC2:TGID_Z_EN: 1
; COMPUTE_PGM_RSRC2:TIDIG_COMP_CNT: 0
	.section	.text._ZN9rocsparse31csrmmnn_row_split_shared_kernelILj256ELj8EillaaiEEvNS_24const_host_device_scalarIT1_EES3_bbbT3_S4_llPKT2_PKS4_PKT4_PKT5_llPT6_ll16rocsparse_order_21rocsparse_index_base_,"axG",@progbits,_ZN9rocsparse31csrmmnn_row_split_shared_kernelILj256ELj8EillaaiEEvNS_24const_host_device_scalarIT1_EES3_bbbT3_S4_llPKT2_PKS4_PKT4_PKT5_llPT6_ll16rocsparse_order_21rocsparse_index_base_,comdat
	.protected	_ZN9rocsparse31csrmmnn_row_split_shared_kernelILj256ELj8EillaaiEEvNS_24const_host_device_scalarIT1_EES3_bbbT3_S4_llPKT2_PKS4_PKT4_PKT5_llPT6_ll16rocsparse_order_21rocsparse_index_base_ ; -- Begin function _ZN9rocsparse31csrmmnn_row_split_shared_kernelILj256ELj8EillaaiEEvNS_24const_host_device_scalarIT1_EES3_bbbT3_S4_llPKT2_PKS4_PKT4_PKT5_llPT6_ll16rocsparse_order_21rocsparse_index_base_
	.globl	_ZN9rocsparse31csrmmnn_row_split_shared_kernelILj256ELj8EillaaiEEvNS_24const_host_device_scalarIT1_EES3_bbbT3_S4_llPKT2_PKS4_PKT4_PKT5_llPT6_ll16rocsparse_order_21rocsparse_index_base_
	.p2align	8
	.type	_ZN9rocsparse31csrmmnn_row_split_shared_kernelILj256ELj8EillaaiEEvNS_24const_host_device_scalarIT1_EES3_bbbT3_S4_llPKT2_PKS4_PKT4_PKT5_llPT6_ll16rocsparse_order_21rocsparse_index_base_,@function
_ZN9rocsparse31csrmmnn_row_split_shared_kernelILj256ELj8EillaaiEEvNS_24const_host_device_scalarIT1_EES3_bbbT3_S4_llPKT2_PKS4_PKT4_PKT5_llPT6_ll16rocsparse_order_21rocsparse_index_base_: ; @_ZN9rocsparse31csrmmnn_row_split_shared_kernelILj256ELj8EillaaiEEvNS_24const_host_device_scalarIT1_EES3_bbbT3_S4_llPKT2_PKS4_PKT4_PKT5_llPT6_ll16rocsparse_order_21rocsparse_index_base_
; %bb.0:
	s_clause 0x1
	s_load_b32 s2, s[0:1], 0x10
	s_load_b128 s[4:7], s[0:1], 0x0
	s_mov_b32 s3, -1
                                        ; implicit-def: $sgpr34
	s_wait_kmcnt 0x0
	s_bitcmp1_b32 s2, 0
	s_cselect_b32 s2, -1, 0
	s_delay_alu instid0(SALU_CYCLE_1) | instskip(NEXT) | instid1(SALU_CYCLE_1)
	s_xor_b32 s2, s2, -1
	s_and_b32 vcc_lo, exec_lo, s2
	s_cbranch_vccnz .LBB17_4
; %bb.1:
	s_and_not1_b32 vcc_lo, exec_lo, s3
	s_cbranch_vccz .LBB17_5
.LBB17_2:
	s_and_b32 vcc_lo, exec_lo, s2
	s_cbranch_vccz .LBB17_6
.LBB17_3:
	s_load_b32 s33, s[6:7], 0x0
	s_cbranch_execz .LBB17_7
	s_branch .LBB17_8
.LBB17_4:
	s_load_b32 s34, s[4:5], 0x0
	s_cbranch_execnz .LBB17_2
.LBB17_5:
	s_wait_kmcnt 0x0
	s_mov_b32 s34, s4
	s_and_b32 vcc_lo, exec_lo, s2
	s_cbranch_vccnz .LBB17_3
.LBB17_6:
                                        ; implicit-def: $sgpr33
.LBB17_7:
	s_wait_kmcnt 0x0
	s_mov_b32 s33, s6
.LBB17_8:
	s_wait_kmcnt 0x0
	s_cmp_eq_u32 s34, 0
	s_cselect_b32 s2, -1, 0
	s_cmp_eq_u32 s33, 1
	s_cselect_b32 s3, -1, 0
	s_delay_alu instid0(SALU_CYCLE_1) | instskip(NEXT) | instid1(SALU_CYCLE_1)
	s_and_b32 s2, s2, s3
	s_and_b32 vcc_lo, exec_lo, s2
	s_cbranch_vccnz .LBB17_25
; %bb.9:
	s_load_b512 s[4:19], s[0:1], 0x18
	v_lshl_or_b32 v1, ttmp9, 8, v0
	v_mov_b32_e32 v6, 0
	s_mov_b32 s2, exec_lo
	s_delay_alu instid0(VALU_DEP_2) | instskip(SKIP_1) | instid1(VALU_DEP_1)
	v_lshrrev_b32_e32 v5, 3, v1
	s_wait_kmcnt 0x0
	v_cmpx_gt_i64_e64 s[4:5], v[5:6]
	s_cbranch_execz .LBB17_25
; %bb.10:
	s_mov_b32 s3, 0
	s_lshr_b32 s2, ttmp7, 16
	v_dual_mov_b32 v8, v6 :: v_dual_lshlrev_b32 v1, 3, v5
	s_mul_u64 s[4:5], s[8:9], s[2:3]
	v_and_b32_e32 v14, 7, v0
	s_wait_alu 0xfffe
	s_lshl_b64 s[4:5], s[4:5], 3
	s_wait_alu 0xfffe
	s_add_nc_u64 s[4:5], s[12:13], s[4:5]
	global_load_b128 v[1:4], v1, s[4:5]
	s_clause 0x1
	s_load_b256 s[20:27], s[0:1], 0x58
	s_load_b128 s[28:31], s[0:1], 0x78
	s_and_b32 s0, ttmp7, 0xffff
	s_mov_b32 s4, exec_lo
	s_wait_alu 0xfffe
	v_lshl_or_b32 v7, s0, 3, v14
	s_wait_loadcnt 0x0
	v_cmpx_lt_i64_e64 v[1:2], v[3:4]
	s_cbranch_execz .LBB17_18
; %bb.11:
	s_wait_kmcnt 0x0
	v_mad_co_u64_u32 v[9:10], null, s20, v7, s[18:19]
	v_mad_co_u64_u32 v[11:12], null, s10, s2, v[1:2]
	v_sub_co_u32 v3, vcc_lo, v3, s31
	s_delay_alu instid0(VALU_DEP_1) | instskip(NEXT) | instid1(VALU_DEP_4)
	v_subrev_co_ci_u32_e64 v4, null, 0, v4, vcc_lo
	v_mov_b32_e32 v6, v10
	s_mul_u64 s[0:1], s[10:11], s[2:3]
	s_delay_alu instid0(VALU_DEP_4)
	v_mov_b32_e32 v10, v12
	s_wait_alu 0xfffe
	s_add_nc_u64 s[8:9], s[16:17], s[0:1]
	s_mov_b32 s5, s3
	v_mad_co_u64_u32 v[12:13], null, s21, v7, v[6:7]
	v_mad_co_u64_u32 v[15:16], null, s11, s2, v[10:11]
	v_lshrrev_b32_e32 v13, 3, v0
	v_sub_co_u32 v0, vcc_lo, v1, s31
	s_wait_alu 0xfffd
	v_subrev_co_ci_u32_e64 v1, null, 0, v2, vcc_lo
	v_add_co_u32 v2, vcc_lo, v11, v14
	v_mov_b32_e32 v10, v12
	s_wait_alu 0xfffd
	v_add_co_ci_u32_e64 v12, null, 0, v15, vcc_lo
	s_delay_alu instid0(VALU_DEP_3) | instskip(NEXT) | instid1(VALU_DEP_3)
	v_sub_co_u32 v11, vcc_lo, v2, s31
	v_mad_co_u64_u32 v[9:10], null, s22, s2, v[9:10]
	s_wait_alu 0xfffd
	s_delay_alu instid0(VALU_DEP_3) | instskip(SKIP_3) | instid1(VALU_DEP_4)
	v_subrev_co_ci_u32_e64 v12, null, 0, v12, vcc_lo
	v_lshlrev_b32_e32 v2, 6, v13
	v_lshl_or_b32 v15, v13, 5, 0x800
	v_mov_b32_e32 v6, 0
	v_lshlrev_b64_e32 v[11:12], 3, v[11:12]
	v_cmp_gt_i64_e32 vcc_lo, s[6:7], v[7:8]
	v_lshl_or_b32 v16, v14, 3, v2
	v_lshl_or_b32 v17, v14, 2, v15
	s_delay_alu instid0(VALU_DEP_4)
	v_mad_co_u64_u32 v[18:19], null, s23, s2, v[10:11]
	v_add_co_u32 v10, s0, s14, v11
	s_wait_alu 0xf1ff
	v_add_co_ci_u32_e64 v11, null, s15, v12, s0
	v_add_co_u32 v19, s0, s8, v14
	s_wait_alu 0xf1ff
	v_add_co_ci_u32_e64 v20, null, s9, 0, s0
	s_mov_b32 s8, s31
	s_branch .LBB17_13
.LBB17_12:                              ;   in Loop: Header=BB17_13 Depth=1
	s_wait_alu 0xfffe
	s_or_b32 exec_lo, exec_lo, s1
	v_add_co_u32 v0, s0, v0, 8
	s_wait_alu 0xf1ff
	v_add_co_ci_u32_e64 v1, null, 0, v1, s0
	v_add_co_u32 v10, s1, v10, 64
	s_wait_alu 0xf1ff
	v_add_co_ci_u32_e64 v11, null, 0, v11, s1
	s_delay_alu instid0(VALU_DEP_3)
	v_cmp_ge_i64_e64 s0, v[0:1], v[3:4]
	s_or_b32 s5, s0, s5
	s_wait_alu 0xfffe
	s_and_not1_b32 exec_lo, exec_lo, s5
	s_cbranch_execz .LBB17_17
.LBB17_13:                              ; =>This Inner Loop Header: Depth=1
	v_add_co_u32 v12, s0, v14, v0
	s_wait_alu 0xf1ff
	v_add_co_ci_u32_e64 v13, null, 0, v1, s0
	s_barrier_signal -1
	s_barrier_wait -1
	s_delay_alu instid0(VALU_DEP_1)
	v_cmp_lt_i64_e64 s0, v[12:13], v[3:4]
	v_dual_mov_b32 v12, 0 :: v_dual_mov_b32 v21, 0
	v_mov_b32_e32 v13, 0
	global_inv scope:SCOPE_SE
	s_and_saveexec_b32 s1, s0
	s_cbranch_execz .LBB17_15
; %bb.14:                               ;   in Loop: Header=BB17_13 Depth=1
	global_load_b64 v[12:13], v[10:11], off
	v_add_co_u32 v21, s0, v19, v0
	s_wait_alu 0xf1ff
	v_add_co_ci_u32_e64 v22, null, v20, v1, s0
	global_load_i8 v21, v[21:22], off
	s_wait_loadcnt 0x1
	s_wait_alu 0xfffe
	v_sub_co_u32 v12, s0, v12, s8
	s_wait_alu 0xf1ff
	v_subrev_co_ci_u32_e64 v13, null, 0, v13, s0
.LBB17_15:                              ;   in Loop: Header=BB17_13 Depth=1
	s_wait_alu 0xfffe
	s_or_b32 exec_lo, exec_lo, s1
	ds_store_b64 v16, v[12:13]
	s_wait_loadcnt 0x0
	ds_store_b32 v17, v21
	s_wait_dscnt 0x0
	s_barrier_signal -1
	s_barrier_wait -1
	global_inv scope:SCOPE_SE
	s_and_saveexec_b32 s1, vcc_lo
	s_cbranch_execz .LBB17_12
; %bb.16:                               ;   in Loop: Header=BB17_13 Depth=1
	ds_load_b128 v[21:24], v2
	ds_load_b128 v[25:28], v2 offset:16
	ds_load_b128 v[29:32], v2 offset:32
	;; [unrolled: 1-line block ×3, first 2 shown]
	s_wait_dscnt 0x3
	v_add_co_u32 v12, s0, v9, v21
	s_wait_alu 0xf1ff
	v_add_co_ci_u32_e64 v13, null, v18, v22, s0
	v_add_co_u32 v21, s0, v9, v23
	s_wait_alu 0xf1ff
	v_add_co_ci_u32_e64 v22, null, v18, v24, s0
	s_wait_dscnt 0x2
	v_add_co_u32 v23, s0, v9, v25
	s_wait_alu 0xf1ff
	v_add_co_ci_u32_e64 v24, null, v18, v26, s0
	v_add_co_u32 v25, s0, v9, v27
	s_wait_alu 0xf1ff
	v_add_co_ci_u32_e64 v26, null, v18, v28, s0
	s_clause 0x3
	global_load_i8 v37, v[12:13], off
	global_load_i8 v38, v[21:22], off
	;; [unrolled: 1-line block ×4, first 2 shown]
	s_wait_dscnt 0x1
	v_add_co_u32 v12, s0, v9, v29
	s_wait_alu 0xf1ff
	v_add_co_ci_u32_e64 v13, null, v18, v30, s0
	v_add_co_u32 v21, s0, v9, v31
	s_wait_alu 0xf1ff
	v_add_co_ci_u32_e64 v22, null, v18, v32, s0
	s_wait_dscnt 0x0
	v_add_co_u32 v23, s0, v9, v33
	s_wait_alu 0xf1ff
	v_add_co_ci_u32_e64 v24, null, v18, v34, s0
	v_add_co_u32 v25, s0, v9, v35
	s_wait_alu 0xf1ff
	v_add_co_ci_u32_e64 v26, null, v18, v36, s0
	s_clause 0x3
	global_load_i8 v12, v[12:13], off
	global_load_i8 v13, v[21:22], off
	;; [unrolled: 1-line block ×4, first 2 shown]
	ds_load_b128 v[21:24], v15
	ds_load_b128 v[25:28], v15 offset:16
	s_wait_loadcnt_dscnt 0x701
	v_mul_lo_u32 v21, v21, v37
	s_wait_loadcnt 0x6
	v_mul_lo_u32 v22, v22, v38
	s_wait_loadcnt 0x5
	;; [unrolled: 2-line block ×3, first 2 shown]
	v_mul_lo_u32 v24, v24, v40
	s_delay_alu instid0(VALU_DEP_3) | instskip(NEXT) | instid1(VALU_DEP_1)
	v_add3_u32 v6, v21, v6, v22
	v_add3_u32 v6, v6, v23, v24
	s_wait_loadcnt_dscnt 0x300
	v_mul_lo_u32 v12, v25, v12
	s_wait_loadcnt 0x2
	v_mul_lo_u32 v13, v26, v13
	s_wait_loadcnt 0x1
	;; [unrolled: 2-line block ×3, first 2 shown]
	v_mul_lo_u32 v22, v28, v30
	s_delay_alu instid0(VALU_DEP_3) | instskip(NEXT) | instid1(VALU_DEP_1)
	v_add3_u32 v6, v6, v12, v13
	v_add3_u32 v6, v6, v21, v22
	s_branch .LBB17_12
.LBB17_17:
	s_or_b32 exec_lo, exec_lo, s5
.LBB17_18:
	s_delay_alu instid0(SALU_CYCLE_1)
	s_or_b32 exec_lo, exec_lo, s4
	v_cmp_gt_i64_e32 vcc_lo, s[6:7], v[7:8]
	s_and_b32 exec_lo, exec_lo, vcc_lo
	s_cbranch_execz .LBB17_25
; %bb.19:
	v_mul_lo_u32 v0, v6, s34
	s_wait_kmcnt 0x0
	s_cmp_lg_u32 s30, 1
	s_mul_u64 s[0:1], s[28:29], s[2:3]
	s_cselect_b32 s4, -1, 0
	s_cmp_lg_u32 s33, 0
	s_cbranch_scc0 .LBB17_26
; %bb.20:
	s_wait_alu 0xfffe
	s_and_b32 vcc_lo, exec_lo, s4
	s_mov_b32 s2, -1
	s_wait_alu 0xfffe
	s_cbranch_vccz .LBB17_22
; %bb.21:
	v_mad_co_u64_u32 v[1:2], null, s26, v5, 0
	s_lshl_b64 s[2:3], s[0:1], 2
	v_mad_co_u64_u32 v[2:3], null, s27, v5, v[2:3]
	v_lshlrev_b32_e32 v3, 2, v7
	s_delay_alu instid0(VALU_DEP_2) | instskip(NEXT) | instid1(VALU_DEP_1)
	v_lshlrev_b64_e32 v[1:2], 2, v[1:2]
	v_add_co_u32 v1, vcc_lo, s24, v1
	s_wait_alu 0xfffd
	s_delay_alu instid0(VALU_DEP_2) | instskip(NEXT) | instid1(VALU_DEP_2)
	v_add_co_ci_u32_e64 v2, null, s25, v2, vcc_lo
	v_add_co_u32 v1, vcc_lo, v1, v3
	s_wait_alu 0xfffd
	s_delay_alu instid0(VALU_DEP_2) | instskip(SKIP_1) | instid1(VALU_DEP_2)
	v_add_co_ci_u32_e64 v2, null, 0, v2, vcc_lo
	s_wait_alu 0xfffe
	v_add_co_u32 v1, vcc_lo, v1, s2
	s_wait_alu 0xfffd
	s_delay_alu instid0(VALU_DEP_2)
	v_add_co_ci_u32_e64 v2, null, s3, v2, vcc_lo
	s_mov_b32 s2, 0
	global_load_b32 v3, v[1:2], off
	s_wait_loadcnt 0x0
	v_mad_co_u64_u32 v[3:4], null, v3, s33, v[0:1]
	global_store_b32 v[1:2], v3, off
.LBB17_22:
	s_wait_alu 0xfffe
	s_and_not1_b32 vcc_lo, exec_lo, s2
	s_wait_alu 0xfffe
	s_cbranch_vccnz .LBB17_24
; %bb.23:
	v_mad_co_u64_u32 v[1:2], null, s26, v7, 0
	s_lshl_b64 s[2:3], s[0:1], 2
	v_mad_co_u64_u32 v[2:3], null, s27, v7, v[2:3]
	v_lshlrev_b32_e32 v3, 2, v5
	s_delay_alu instid0(VALU_DEP_2) | instskip(NEXT) | instid1(VALU_DEP_1)
	v_lshlrev_b64_e32 v[1:2], 2, v[1:2]
	v_add_co_u32 v1, vcc_lo, s24, v1
	s_wait_alu 0xfffd
	s_delay_alu instid0(VALU_DEP_2) | instskip(NEXT) | instid1(VALU_DEP_2)
	v_add_co_ci_u32_e64 v2, null, s25, v2, vcc_lo
	v_add_co_u32 v1, vcc_lo, v1, v3
	s_wait_alu 0xfffd
	s_delay_alu instid0(VALU_DEP_2) | instskip(SKIP_1) | instid1(VALU_DEP_2)
	v_add_co_ci_u32_e64 v2, null, 0, v2, vcc_lo
	s_wait_alu 0xfffe
	v_add_co_u32 v1, vcc_lo, v1, s2
	s_wait_alu 0xfffd
	s_delay_alu instid0(VALU_DEP_2)
	v_add_co_ci_u32_e64 v2, null, s3, v2, vcc_lo
	global_load_b32 v3, v[1:2], off
	s_wait_loadcnt 0x0
	v_mad_co_u64_u32 v[3:4], null, v3, s33, v[0:1]
	global_store_b32 v[1:2], v3, off
.LBB17_24:
	s_cbranch_execz .LBB17_27
.LBB17_25:
	s_endpgm
.LBB17_26:
.LBB17_27:
	s_wait_alu 0xfffe
	s_and_b32 vcc_lo, exec_lo, s4
	s_mov_b32 s2, -1
	s_wait_alu 0xfffe
	s_cbranch_vccz .LBB17_29
; %bb.28:
	v_mad_co_u64_u32 v[1:2], null, s26, v5, 0
	s_lshl_b64 s[2:3], s[0:1], 2
	v_mad_co_u64_u32 v[2:3], null, s27, v5, v[2:3]
	v_lshlrev_b32_e32 v3, 2, v7
	s_delay_alu instid0(VALU_DEP_2) | instskip(NEXT) | instid1(VALU_DEP_1)
	v_lshlrev_b64_e32 v[1:2], 2, v[1:2]
	v_add_co_u32 v1, vcc_lo, s24, v1
	s_wait_alu 0xfffd
	s_delay_alu instid0(VALU_DEP_2) | instskip(NEXT) | instid1(VALU_DEP_2)
	v_add_co_ci_u32_e64 v2, null, s25, v2, vcc_lo
	v_add_co_u32 v1, vcc_lo, v1, v3
	s_wait_alu 0xfffd
	s_delay_alu instid0(VALU_DEP_2) | instskip(SKIP_1) | instid1(VALU_DEP_2)
	v_add_co_ci_u32_e64 v2, null, 0, v2, vcc_lo
	s_wait_alu 0xfffe
	v_add_co_u32 v1, vcc_lo, v1, s2
	s_wait_alu 0xfffd
	s_delay_alu instid0(VALU_DEP_2)
	v_add_co_ci_u32_e64 v2, null, s3, v2, vcc_lo
	s_mov_b32 s2, 0
	global_store_b32 v[1:2], v0, off
.LBB17_29:
	s_wait_alu 0xfffe
	s_and_not1_b32 vcc_lo, exec_lo, s2
	s_wait_alu 0xfffe
	s_cbranch_vccnz .LBB17_25
; %bb.30:
	v_mad_co_u64_u32 v[1:2], null, s26, v7, 0
	s_lshl_b64 s[0:1], s[0:1], 2
	v_mad_co_u64_u32 v[2:3], null, s27, v7, v[2:3]
	v_lshlrev_b32_e32 v3, 2, v5
	s_delay_alu instid0(VALU_DEP_2) | instskip(NEXT) | instid1(VALU_DEP_1)
	v_lshlrev_b64_e32 v[1:2], 2, v[1:2]
	v_add_co_u32 v1, vcc_lo, s24, v1
	s_wait_alu 0xfffd
	s_delay_alu instid0(VALU_DEP_2) | instskip(NEXT) | instid1(VALU_DEP_2)
	v_add_co_ci_u32_e64 v2, null, s25, v2, vcc_lo
	v_add_co_u32 v1, vcc_lo, v1, v3
	s_wait_alu 0xfffd
	s_delay_alu instid0(VALU_DEP_2) | instskip(SKIP_1) | instid1(VALU_DEP_2)
	v_add_co_ci_u32_e64 v2, null, 0, v2, vcc_lo
	s_wait_alu 0xfffe
	v_add_co_u32 v1, vcc_lo, v1, s0
	s_wait_alu 0xfffd
	s_delay_alu instid0(VALU_DEP_2)
	v_add_co_ci_u32_e64 v2, null, s1, v2, vcc_lo
	global_store_b32 v[1:2], v0, off
	s_endpgm
	.section	.rodata,"a",@progbits
	.p2align	6, 0x0
	.amdhsa_kernel _ZN9rocsparse31csrmmnn_row_split_shared_kernelILj256ELj8EillaaiEEvNS_24const_host_device_scalarIT1_EES3_bbbT3_S4_llPKT2_PKS4_PKT4_PKT5_llPT6_ll16rocsparse_order_21rocsparse_index_base_
		.amdhsa_group_segment_fixed_size 3072
		.amdhsa_private_segment_fixed_size 0
		.amdhsa_kernarg_size 136
		.amdhsa_user_sgpr_count 2
		.amdhsa_user_sgpr_dispatch_ptr 0
		.amdhsa_user_sgpr_queue_ptr 0
		.amdhsa_user_sgpr_kernarg_segment_ptr 1
		.amdhsa_user_sgpr_dispatch_id 0
		.amdhsa_user_sgpr_private_segment_size 0
		.amdhsa_wavefront_size32 1
		.amdhsa_uses_dynamic_stack 0
		.amdhsa_enable_private_segment 0
		.amdhsa_system_sgpr_workgroup_id_x 1
		.amdhsa_system_sgpr_workgroup_id_y 1
		.amdhsa_system_sgpr_workgroup_id_z 1
		.amdhsa_system_sgpr_workgroup_info 0
		.amdhsa_system_vgpr_workitem_id 0
		.amdhsa_next_free_vgpr 41
		.amdhsa_next_free_sgpr 35
		.amdhsa_reserve_vcc 1
		.amdhsa_float_round_mode_32 0
		.amdhsa_float_round_mode_16_64 0
		.amdhsa_float_denorm_mode_32 3
		.amdhsa_float_denorm_mode_16_64 3
		.amdhsa_fp16_overflow 0
		.amdhsa_workgroup_processor_mode 1
		.amdhsa_memory_ordered 1
		.amdhsa_forward_progress 1
		.amdhsa_inst_pref_size 16
		.amdhsa_round_robin_scheduling 0
		.amdhsa_exception_fp_ieee_invalid_op 0
		.amdhsa_exception_fp_denorm_src 0
		.amdhsa_exception_fp_ieee_div_zero 0
		.amdhsa_exception_fp_ieee_overflow 0
		.amdhsa_exception_fp_ieee_underflow 0
		.amdhsa_exception_fp_ieee_inexact 0
		.amdhsa_exception_int_div_zero 0
	.end_amdhsa_kernel
	.section	.text._ZN9rocsparse31csrmmnn_row_split_shared_kernelILj256ELj8EillaaiEEvNS_24const_host_device_scalarIT1_EES3_bbbT3_S4_llPKT2_PKS4_PKT4_PKT5_llPT6_ll16rocsparse_order_21rocsparse_index_base_,"axG",@progbits,_ZN9rocsparse31csrmmnn_row_split_shared_kernelILj256ELj8EillaaiEEvNS_24const_host_device_scalarIT1_EES3_bbbT3_S4_llPKT2_PKS4_PKT4_PKT5_llPT6_ll16rocsparse_order_21rocsparse_index_base_,comdat
.Lfunc_end17:
	.size	_ZN9rocsparse31csrmmnn_row_split_shared_kernelILj256ELj8EillaaiEEvNS_24const_host_device_scalarIT1_EES3_bbbT3_S4_llPKT2_PKS4_PKT4_PKT5_llPT6_ll16rocsparse_order_21rocsparse_index_base_, .Lfunc_end17-_ZN9rocsparse31csrmmnn_row_split_shared_kernelILj256ELj8EillaaiEEvNS_24const_host_device_scalarIT1_EES3_bbbT3_S4_llPKT2_PKS4_PKT4_PKT5_llPT6_ll16rocsparse_order_21rocsparse_index_base_
                                        ; -- End function
	.set _ZN9rocsparse31csrmmnn_row_split_shared_kernelILj256ELj8EillaaiEEvNS_24const_host_device_scalarIT1_EES3_bbbT3_S4_llPKT2_PKS4_PKT4_PKT5_llPT6_ll16rocsparse_order_21rocsparse_index_base_.num_vgpr, 41
	.set _ZN9rocsparse31csrmmnn_row_split_shared_kernelILj256ELj8EillaaiEEvNS_24const_host_device_scalarIT1_EES3_bbbT3_S4_llPKT2_PKS4_PKT4_PKT5_llPT6_ll16rocsparse_order_21rocsparse_index_base_.num_agpr, 0
	.set _ZN9rocsparse31csrmmnn_row_split_shared_kernelILj256ELj8EillaaiEEvNS_24const_host_device_scalarIT1_EES3_bbbT3_S4_llPKT2_PKS4_PKT4_PKT5_llPT6_ll16rocsparse_order_21rocsparse_index_base_.numbered_sgpr, 35
	.set _ZN9rocsparse31csrmmnn_row_split_shared_kernelILj256ELj8EillaaiEEvNS_24const_host_device_scalarIT1_EES3_bbbT3_S4_llPKT2_PKS4_PKT4_PKT5_llPT6_ll16rocsparse_order_21rocsparse_index_base_.num_named_barrier, 0
	.set _ZN9rocsparse31csrmmnn_row_split_shared_kernelILj256ELj8EillaaiEEvNS_24const_host_device_scalarIT1_EES3_bbbT3_S4_llPKT2_PKS4_PKT4_PKT5_llPT6_ll16rocsparse_order_21rocsparse_index_base_.private_seg_size, 0
	.set _ZN9rocsparse31csrmmnn_row_split_shared_kernelILj256ELj8EillaaiEEvNS_24const_host_device_scalarIT1_EES3_bbbT3_S4_llPKT2_PKS4_PKT4_PKT5_llPT6_ll16rocsparse_order_21rocsparse_index_base_.uses_vcc, 1
	.set _ZN9rocsparse31csrmmnn_row_split_shared_kernelILj256ELj8EillaaiEEvNS_24const_host_device_scalarIT1_EES3_bbbT3_S4_llPKT2_PKS4_PKT4_PKT5_llPT6_ll16rocsparse_order_21rocsparse_index_base_.uses_flat_scratch, 0
	.set _ZN9rocsparse31csrmmnn_row_split_shared_kernelILj256ELj8EillaaiEEvNS_24const_host_device_scalarIT1_EES3_bbbT3_S4_llPKT2_PKS4_PKT4_PKT5_llPT6_ll16rocsparse_order_21rocsparse_index_base_.has_dyn_sized_stack, 0
	.set _ZN9rocsparse31csrmmnn_row_split_shared_kernelILj256ELj8EillaaiEEvNS_24const_host_device_scalarIT1_EES3_bbbT3_S4_llPKT2_PKS4_PKT4_PKT5_llPT6_ll16rocsparse_order_21rocsparse_index_base_.has_recursion, 0
	.set _ZN9rocsparse31csrmmnn_row_split_shared_kernelILj256ELj8EillaaiEEvNS_24const_host_device_scalarIT1_EES3_bbbT3_S4_llPKT2_PKS4_PKT4_PKT5_llPT6_ll16rocsparse_order_21rocsparse_index_base_.has_indirect_call, 0
	.section	.AMDGPU.csdata,"",@progbits
; Kernel info:
; codeLenInByte = 2012
; TotalNumSgprs: 37
; NumVgprs: 41
; ScratchSize: 0
; MemoryBound: 0
; FloatMode: 240
; IeeeMode: 1
; LDSByteSize: 3072 bytes/workgroup (compile time only)
; SGPRBlocks: 0
; VGPRBlocks: 5
; NumSGPRsForWavesPerEU: 37
; NumVGPRsForWavesPerEU: 41
; Occupancy: 16
; WaveLimiterHint : 0
; COMPUTE_PGM_RSRC2:SCRATCH_EN: 0
; COMPUTE_PGM_RSRC2:USER_SGPR: 2
; COMPUTE_PGM_RSRC2:TRAP_HANDLER: 0
; COMPUTE_PGM_RSRC2:TGID_X_EN: 1
; COMPUTE_PGM_RSRC2:TGID_Y_EN: 1
; COMPUTE_PGM_RSRC2:TGID_Z_EN: 1
; COMPUTE_PGM_RSRC2:TIDIG_COMP_CNT: 0
	.section	.text._ZN9rocsparse31csrmmnn_row_split_shared_kernelILj256ELj8EfiiaafEEvNS_24const_host_device_scalarIT1_EES3_bbbT3_S4_llPKT2_PKS4_PKT4_PKT5_llPT6_ll16rocsparse_order_21rocsparse_index_base_,"axG",@progbits,_ZN9rocsparse31csrmmnn_row_split_shared_kernelILj256ELj8EfiiaafEEvNS_24const_host_device_scalarIT1_EES3_bbbT3_S4_llPKT2_PKS4_PKT4_PKT5_llPT6_ll16rocsparse_order_21rocsparse_index_base_,comdat
	.protected	_ZN9rocsparse31csrmmnn_row_split_shared_kernelILj256ELj8EfiiaafEEvNS_24const_host_device_scalarIT1_EES3_bbbT3_S4_llPKT2_PKS4_PKT4_PKT5_llPT6_ll16rocsparse_order_21rocsparse_index_base_ ; -- Begin function _ZN9rocsparse31csrmmnn_row_split_shared_kernelILj256ELj8EfiiaafEEvNS_24const_host_device_scalarIT1_EES3_bbbT3_S4_llPKT2_PKS4_PKT4_PKT5_llPT6_ll16rocsparse_order_21rocsparse_index_base_
	.globl	_ZN9rocsparse31csrmmnn_row_split_shared_kernelILj256ELj8EfiiaafEEvNS_24const_host_device_scalarIT1_EES3_bbbT3_S4_llPKT2_PKS4_PKT4_PKT5_llPT6_ll16rocsparse_order_21rocsparse_index_base_
	.p2align	8
	.type	_ZN9rocsparse31csrmmnn_row_split_shared_kernelILj256ELj8EfiiaafEEvNS_24const_host_device_scalarIT1_EES3_bbbT3_S4_llPKT2_PKS4_PKT4_PKT5_llPT6_ll16rocsparse_order_21rocsparse_index_base_,@function
_ZN9rocsparse31csrmmnn_row_split_shared_kernelILj256ELj8EfiiaafEEvNS_24const_host_device_scalarIT1_EES3_bbbT3_S4_llPKT2_PKS4_PKT4_PKT5_llPT6_ll16rocsparse_order_21rocsparse_index_base_: ; @_ZN9rocsparse31csrmmnn_row_split_shared_kernelILj256ELj8EfiiaafEEvNS_24const_host_device_scalarIT1_EES3_bbbT3_S4_llPKT2_PKS4_PKT4_PKT5_llPT6_ll16rocsparse_order_21rocsparse_index_base_
; %bb.0:
	s_clause 0x1
	s_load_b96 s[24:26], s[0:1], 0x10
	s_load_b128 s[20:23], s[0:1], 0x0
	s_wait_kmcnt 0x0
	s_bitcmp1_b32 s24, 0
	s_cselect_b32 s2, -1, 0
	s_delay_alu instid0(SALU_CYCLE_1)
	s_and_b32 vcc_lo, exec_lo, s2
	s_xor_b32 s2, s2, -1
	s_cbranch_vccnz .LBB18_2
; %bb.1:
	s_load_b32 s20, s[20:21], 0x0
.LBB18_2:
	s_and_not1_b32 vcc_lo, exec_lo, s2
	s_cbranch_vccnz .LBB18_4
; %bb.3:
	s_load_b32 s22, s[22:23], 0x0
.LBB18_4:
	s_wait_kmcnt 0x0
	s_cmp_eq_f32 s20, 0
	s_cselect_b32 s2, -1, 0
	s_cmp_eq_f32 s22, 1.0
	s_cselect_b32 s3, -1, 0
	s_delay_alu instid0(SALU_CYCLE_1) | instskip(NEXT) | instid1(SALU_CYCLE_1)
	s_and_b32 s2, s2, s3
	s_and_b32 vcc_lo, exec_lo, s2
	s_cbranch_vccnz .LBB18_21
; %bb.5:
	v_lshl_or_b32 v1, ttmp9, 8, v0
	s_mov_b32 s2, exec_lo
	s_delay_alu instid0(VALU_DEP_1) | instskip(NEXT) | instid1(VALU_DEP_1)
	v_lshrrev_b32_e32 v6, 3, v1
	v_cmpx_gt_i32_e64 s25, v6
	s_cbranch_execz .LBB18_21
; %bb.6:
	s_load_b512 s[4:19], s[0:1], 0x20
	s_mov_b32 s25, 0
	s_lshr_b32 s24, ttmp7, 16
	v_dual_mov_b32 v2, 0 :: v_dual_lshlrev_b32 v5, 2, v6
	v_and_b32_e32 v8, 7, v0
	s_wait_kmcnt 0x0
	s_wait_alu 0xfffe
	s_mul_u64 s[2:3], s[4:5], s[24:25]
	s_load_b64 s[4:5], s[0:1], 0x78
	s_lshl_b64 s[2:3], s[2:3], 2
	s_delay_alu instid0(SALU_CYCLE_1)
	s_add_nc_u64 s[2:3], s[8:9], s[2:3]
	global_load_b64 v[3:4], v5, s[2:3]
	s_and_b32 s2, ttmp7, 0xffff
	s_mov_b32 s3, exec_lo
	v_lshl_or_b32 v7, s2, 3, v8
	s_wait_loadcnt 0x0
	v_cmpx_lt_i32_e64 v3, v4
	s_cbranch_execz .LBB18_14
; %bb.7:
	s_delay_alu instid0(VALU_DEP_2)
	v_mad_co_u64_u32 v[1:2], null, s16, v7, s[14:15]
	v_lshlrev_b32_e32 v0, 2, v0
	s_wait_kmcnt 0x0
	v_subrev_nc_u32_e32 v4, s5, v4
	s_mul_u64 s[6:7], s[6:7], s[24:25]
	s_mov_b32 s8, s25
	v_cmp_gt_i32_e32 vcc_lo, s26, v7
	v_and_b32_e32 v0, 0x3e0, v0
	v_mad_co_u64_u32 v[9:10], null, s17, v7, v[2:3]
	s_delay_alu instid0(VALU_DEP_1) | instskip(NEXT) | instid1(VALU_DEP_3)
	v_mov_b32_e32 v2, v9
	v_or_b32_e32 v9, 0x400, v0
	s_delay_alu instid0(VALU_DEP_2) | instskip(NEXT) | instid1(VALU_DEP_1)
	v_mad_co_u64_u32 v[1:2], null, s18, s24, v[1:2]
	v_mad_co_u64_u32 v[12:13], null, s19, s24, v[2:3]
	v_lshlrev_b32_e32 v2, 2, v8
	v_subrev_nc_u32_e32 v3, s5, v3
	s_delay_alu instid0(VALU_DEP_2)
	v_or_b32_e32 v10, v0, v2
	v_or_b32_e32 v11, v9, v2
	v_mov_b32_e32 v2, 0
	s_branch .LBB18_9
.LBB18_8:                               ;   in Loop: Header=BB18_9 Depth=1
	s_or_b32 exec_lo, exec_lo, s9
	v_add_nc_u32_e32 v3, 8, v3
	s_delay_alu instid0(VALU_DEP_1) | instskip(SKIP_1) | instid1(SALU_CYCLE_1)
	v_cmp_ge_i32_e64 s2, v3, v4
	s_or_b32 s8, s2, s8
	s_and_not1_b32 exec_lo, exec_lo, s8
	s_cbranch_execz .LBB18_13
.LBB18_9:                               ; =>This Inner Loop Header: Depth=1
	v_dual_mov_b32 v14, 0 :: v_dual_add_nc_u32 v13, v8, v3
	v_mov_b32_e32 v15, 0
	s_mov_b32 s9, exec_lo
	s_barrier_signal -1
	s_barrier_wait -1
	global_inv scope:SCOPE_SE
	v_cmpx_lt_i32_e64 v13, v4
	s_cbranch_execz .LBB18_11
; %bb.10:                               ;   in Loop: Header=BB18_9 Depth=1
	v_ashrrev_i32_e32 v14, 31, v13
	v_add_co_u32 v13, s2, s6, v13
	s_wait_alu 0xf1ff
	s_delay_alu instid0(VALU_DEP_2) | instskip(NEXT) | instid1(VALU_DEP_1)
	v_add_co_ci_u32_e64 v14, null, s7, v14, s2
	v_lshlrev_b64_e32 v[15:16], 2, v[13:14]
	s_delay_alu instid0(VALU_DEP_1) | instskip(SKIP_1) | instid1(VALU_DEP_2)
	v_add_co_u32 v15, s2, s10, v15
	s_wait_alu 0xf1ff
	v_add_co_ci_u32_e64 v16, null, s11, v16, s2
	v_add_co_u32 v13, s2, s12, v13
	s_wait_alu 0xf1ff
	v_add_co_ci_u32_e64 v14, null, s13, v14, s2
	global_load_b32 v15, v[15:16], off
	global_load_i8 v13, v[13:14], off
	s_wait_loadcnt 0x1
	v_subrev_nc_u32_e32 v14, s5, v15
	s_wait_loadcnt 0x0
	v_cvt_f32_i32_e32 v15, v13
.LBB18_11:                              ;   in Loop: Header=BB18_9 Depth=1
	s_or_b32 exec_lo, exec_lo, s9
	ds_store_b32 v10, v14
	ds_store_b32 v11, v15
	s_wait_loadcnt_dscnt 0x0
	s_barrier_signal -1
	s_barrier_wait -1
	global_inv scope:SCOPE_SE
	s_and_saveexec_b32 s9, vcc_lo
	s_cbranch_execz .LBB18_8
; %bb.12:                               ;   in Loop: Header=BB18_9 Depth=1
	ds_load_b128 v[13:16], v0
	ds_load_b128 v[17:20], v0 offset:16
	s_wait_dscnt 0x1
	v_ashrrev_i32_e32 v22, 31, v13
	v_add_co_u32 v21, s2, v1, v13
	v_ashrrev_i32_e32 v23, 31, v14
	v_ashrrev_i32_e32 v24, 31, v15
	s_wait_alu 0xf1ff
	v_add_co_ci_u32_e64 v22, null, v12, v22, s2
	v_add_co_u32 v13, s2, v1, v14
	s_wait_alu 0xf1ff
	v_add_co_ci_u32_e64 v14, null, v12, v23, s2
	global_load_i8 v23, v[21:22], off
	v_add_co_u32 v21, s2, v1, v15
	s_wait_alu 0xf1ff
	v_add_co_ci_u32_e64 v22, null, v12, v24, s2
	v_ashrrev_i32_e32 v25, 31, v16
	global_load_i8 v24, v[13:14], off
	s_wait_dscnt 0x0
	v_ashrrev_i32_e32 v26, 31, v17
	global_load_i8 v21, v[21:22], off
	v_add_co_u32 v13, s2, v1, v16
	s_wait_alu 0xf1ff
	v_add_co_ci_u32_e64 v14, null, v12, v25, s2
	v_add_co_u32 v15, s2, v1, v17
	s_wait_alu 0xf1ff
	v_add_co_ci_u32_e64 v16, null, v12, v26, s2
	v_ashrrev_i32_e32 v27, 31, v18
	v_ashrrev_i32_e32 v28, 31, v19
	s_clause 0x1
	global_load_i8 v22, v[13:14], off
	global_load_i8 v25, v[15:16], off
	v_add_co_u32 v13, s2, v1, v18
	s_wait_alu 0xf1ff
	v_add_co_ci_u32_e64 v14, null, v12, v27, s2
	v_add_co_u32 v15, s2, v1, v19
	s_wait_alu 0xf1ff
	v_add_co_ci_u32_e64 v16, null, v12, v28, s2
	s_clause 0x1
	global_load_i8 v26, v[13:14], off
	global_load_i8 v27, v[15:16], off
	v_ashrrev_i32_e32 v14, 31, v20
	v_add_co_u32 v13, s2, v1, v20
	ds_load_b128 v[17:20], v9 offset:16
	s_wait_alu 0xf1ff
	v_add_co_ci_u32_e64 v14, null, v12, v14, s2
	global_load_i8 v28, v[13:14], off
	ds_load_b128 v[13:16], v9
	s_wait_loadcnt 0x7
	v_cvt_f32_i32_e32 v23, v23
	s_wait_dscnt 0x0
	s_delay_alu instid0(VALU_DEP_1) | instskip(SKIP_4) | instid1(VALU_DEP_2)
	v_fmac_f32_e32 v2, v13, v23
	s_wait_loadcnt 0x6
	v_cvt_f32_i32_e32 v24, v24
	s_wait_loadcnt 0x5
	v_cvt_f32_i32_e32 v13, v21
	v_fmac_f32_e32 v2, v14, v24
	s_delay_alu instid0(VALU_DEP_1) | instskip(SKIP_4) | instid1(VALU_DEP_2)
	v_fmac_f32_e32 v2, v15, v13
	s_wait_loadcnt 0x4
	v_cvt_f32_i32_e32 v14, v22
	s_wait_loadcnt 0x3
	v_cvt_f32_i32_e32 v13, v25
	v_fmac_f32_e32 v2, v16, v14
	s_wait_loadcnt 0x2
	v_cvt_f32_i32_e32 v14, v26
	s_delay_alu instid0(VALU_DEP_2) | instskip(SKIP_2) | instid1(VALU_DEP_2)
	v_fmac_f32_e32 v2, v17, v13
	s_wait_loadcnt 0x1
	v_cvt_f32_i32_e32 v13, v27
	v_fmac_f32_e32 v2, v18, v14
	s_delay_alu instid0(VALU_DEP_1) | instskip(SKIP_2) | instid1(VALU_DEP_1)
	v_fmac_f32_e32 v2, v19, v13
	s_wait_loadcnt 0x0
	v_cvt_f32_i32_e32 v13, v28
	v_fmac_f32_e32 v2, v20, v13
	s_branch .LBB18_8
.LBB18_13:
	s_or_b32 exec_lo, exec_lo, s8
.LBB18_14:
	s_delay_alu instid0(SALU_CYCLE_1)
	s_or_b32 exec_lo, exec_lo, s3
	v_cmp_gt_i32_e32 vcc_lo, s26, v7
	s_and_b32 exec_lo, exec_lo, vcc_lo
	s_cbranch_execz .LBB18_21
; %bb.15:
	s_clause 0x1
	s_load_b64 s[8:9], s[0:1], 0x70
	s_load_b128 s[0:3], s[0:1], 0x60
	s_wait_kmcnt 0x0
	s_cmp_lg_u32 s4, 1
	v_mul_f32_e32 v0, s20, v2
	s_cselect_b32 s6, -1, 0
	s_cmp_neq_f32 s22, 0
	s_mul_u64 s[4:5], s[8:9], s[24:25]
	s_cbranch_scc0 .LBB18_22
; %bb.16:
	s_wait_alu 0xfffe
	s_and_b32 vcc_lo, exec_lo, s6
	s_mov_b32 s7, -1
	s_cbranch_vccz .LBB18_18
; %bb.17:
	v_mad_co_u64_u32 v[1:2], null, s2, v6, 0
	s_lshl_b64 s[8:9], s[4:5], 2
	s_mov_b32 s7, 0
	v_mad_co_u64_u32 v[2:3], null, s3, v6, v[2:3]
	v_lshlrev_b32_e32 v3, 2, v7
	s_delay_alu instid0(VALU_DEP_2) | instskip(NEXT) | instid1(VALU_DEP_1)
	v_lshlrev_b64_e32 v[1:2], 2, v[1:2]
	v_add_co_u32 v1, vcc_lo, s0, v1
	s_delay_alu instid0(VALU_DEP_1) | instskip(NEXT) | instid1(VALU_DEP_2)
	v_add_co_ci_u32_e64 v2, null, s1, v2, vcc_lo
	v_add_co_u32 v1, vcc_lo, v1, v3
	s_wait_alu 0xfffd
	s_delay_alu instid0(VALU_DEP_2) | instskip(NEXT) | instid1(VALU_DEP_2)
	v_add_co_ci_u32_e64 v2, null, 0, v2, vcc_lo
	v_add_co_u32 v1, vcc_lo, v1, s8
	s_wait_alu 0xfffd
	s_delay_alu instid0(VALU_DEP_2)
	v_add_co_ci_u32_e64 v2, null, s9, v2, vcc_lo
	global_load_b32 v3, v[1:2], off
	s_wait_loadcnt 0x0
	v_fma_f32 v3, s22, v3, v0
	global_store_b32 v[1:2], v3, off
.LBB18_18:
	s_wait_alu 0xfffe
	s_and_not1_b32 vcc_lo, exec_lo, s7
	s_wait_alu 0xfffe
	s_cbranch_vccnz .LBB18_20
; %bb.19:
	v_mad_co_u64_u32 v[1:2], null, s2, v7, 0
	s_lshl_b64 s[8:9], s[4:5], 2
	v_mad_co_u64_u32 v[2:3], null, s3, v7, v[2:3]
	s_delay_alu instid0(VALU_DEP_1) | instskip(NEXT) | instid1(VALU_DEP_1)
	v_lshlrev_b64_e32 v[1:2], 2, v[1:2]
	v_add_co_u32 v1, vcc_lo, s0, v1
	s_wait_alu 0xfffd
	s_delay_alu instid0(VALU_DEP_2) | instskip(NEXT) | instid1(VALU_DEP_2)
	v_add_co_ci_u32_e64 v2, null, s1, v2, vcc_lo
	v_add_co_u32 v1, vcc_lo, v1, v5
	s_wait_alu 0xfffd
	s_delay_alu instid0(VALU_DEP_2) | instskip(SKIP_1) | instid1(VALU_DEP_2)
	v_add_co_ci_u32_e64 v2, null, 0, v2, vcc_lo
	s_wait_alu 0xfffe
	v_add_co_u32 v1, vcc_lo, v1, s8
	s_wait_alu 0xfffd
	s_delay_alu instid0(VALU_DEP_2)
	v_add_co_ci_u32_e64 v2, null, s9, v2, vcc_lo
	global_load_b32 v3, v[1:2], off
	s_wait_loadcnt 0x0
	v_fma_f32 v3, s22, v3, v0
	global_store_b32 v[1:2], v3, off
.LBB18_20:
	s_cbranch_execz .LBB18_23
.LBB18_21:
	s_endpgm
.LBB18_22:
.LBB18_23:
	s_wait_alu 0xfffe
	s_and_b32 vcc_lo, exec_lo, s6
	s_mov_b32 s6, -1
	s_wait_alu 0xfffe
	s_cbranch_vccz .LBB18_25
; %bb.24:
	v_mad_co_u64_u32 v[1:2], null, s2, v6, 0
	s_lshl_b64 s[6:7], s[4:5], 2
	v_mad_co_u64_u32 v[2:3], null, s3, v6, v[2:3]
	v_lshlrev_b32_e32 v3, 2, v7
	s_delay_alu instid0(VALU_DEP_2) | instskip(NEXT) | instid1(VALU_DEP_1)
	v_lshlrev_b64_e32 v[1:2], 2, v[1:2]
	v_add_co_u32 v1, vcc_lo, s0, v1
	s_wait_alu 0xfffd
	s_delay_alu instid0(VALU_DEP_2) | instskip(NEXT) | instid1(VALU_DEP_2)
	v_add_co_ci_u32_e64 v2, null, s1, v2, vcc_lo
	v_add_co_u32 v1, vcc_lo, v1, v3
	s_wait_alu 0xfffd
	s_delay_alu instid0(VALU_DEP_2) | instskip(SKIP_1) | instid1(VALU_DEP_2)
	v_add_co_ci_u32_e64 v2, null, 0, v2, vcc_lo
	s_wait_alu 0xfffe
	v_add_co_u32 v1, vcc_lo, v1, s6
	s_wait_alu 0xfffd
	s_delay_alu instid0(VALU_DEP_2)
	v_add_co_ci_u32_e64 v2, null, s7, v2, vcc_lo
	s_mov_b32 s6, 0
	global_store_b32 v[1:2], v0, off
.LBB18_25:
	s_wait_alu 0xfffe
	s_and_not1_b32 vcc_lo, exec_lo, s6
	s_wait_alu 0xfffe
	s_cbranch_vccnz .LBB18_21
; %bb.26:
	v_mad_co_u64_u32 v[1:2], null, s2, v7, 0
	s_delay_alu instid0(VALU_DEP_1) | instskip(NEXT) | instid1(VALU_DEP_1)
	v_mad_co_u64_u32 v[2:3], null, s3, v7, v[2:3]
	v_lshlrev_b64_e32 v[1:2], 2, v[1:2]
	s_delay_alu instid0(VALU_DEP_1) | instskip(SKIP_1) | instid1(VALU_DEP_2)
	v_add_co_u32 v1, vcc_lo, s0, v1
	s_wait_alu 0xfffd
	v_add_co_ci_u32_e64 v2, null, s1, v2, vcc_lo
	s_lshl_b64 s[0:1], s[4:5], 2
	v_add_co_u32 v1, vcc_lo, v1, v5
	s_wait_alu 0xfffd
	v_add_co_ci_u32_e64 v2, null, 0, v2, vcc_lo
	s_wait_alu 0xfffe
	s_delay_alu instid0(VALU_DEP_2) | instskip(SKIP_1) | instid1(VALU_DEP_2)
	v_add_co_u32 v1, vcc_lo, v1, s0
	s_wait_alu 0xfffd
	v_add_co_ci_u32_e64 v2, null, s1, v2, vcc_lo
	global_store_b32 v[1:2], v0, off
	s_endpgm
	.section	.rodata,"a",@progbits
	.p2align	6, 0x0
	.amdhsa_kernel _ZN9rocsparse31csrmmnn_row_split_shared_kernelILj256ELj8EfiiaafEEvNS_24const_host_device_scalarIT1_EES3_bbbT3_S4_llPKT2_PKS4_PKT4_PKT5_llPT6_ll16rocsparse_order_21rocsparse_index_base_
		.amdhsa_group_segment_fixed_size 2048
		.amdhsa_private_segment_fixed_size 0
		.amdhsa_kernarg_size 128
		.amdhsa_user_sgpr_count 2
		.amdhsa_user_sgpr_dispatch_ptr 0
		.amdhsa_user_sgpr_queue_ptr 0
		.amdhsa_user_sgpr_kernarg_segment_ptr 1
		.amdhsa_user_sgpr_dispatch_id 0
		.amdhsa_user_sgpr_private_segment_size 0
		.amdhsa_wavefront_size32 1
		.amdhsa_uses_dynamic_stack 0
		.amdhsa_enable_private_segment 0
		.amdhsa_system_sgpr_workgroup_id_x 1
		.amdhsa_system_sgpr_workgroup_id_y 1
		.amdhsa_system_sgpr_workgroup_id_z 1
		.amdhsa_system_sgpr_workgroup_info 0
		.amdhsa_system_vgpr_workitem_id 0
		.amdhsa_next_free_vgpr 29
		.amdhsa_next_free_sgpr 27
		.amdhsa_reserve_vcc 1
		.amdhsa_float_round_mode_32 0
		.amdhsa_float_round_mode_16_64 0
		.amdhsa_float_denorm_mode_32 3
		.amdhsa_float_denorm_mode_16_64 3
		.amdhsa_fp16_overflow 0
		.amdhsa_workgroup_processor_mode 1
		.amdhsa_memory_ordered 1
		.amdhsa_forward_progress 1
		.amdhsa_inst_pref_size 14
		.amdhsa_round_robin_scheduling 0
		.amdhsa_exception_fp_ieee_invalid_op 0
		.amdhsa_exception_fp_denorm_src 0
		.amdhsa_exception_fp_ieee_div_zero 0
		.amdhsa_exception_fp_ieee_overflow 0
		.amdhsa_exception_fp_ieee_underflow 0
		.amdhsa_exception_fp_ieee_inexact 0
		.amdhsa_exception_int_div_zero 0
	.end_amdhsa_kernel
	.section	.text._ZN9rocsparse31csrmmnn_row_split_shared_kernelILj256ELj8EfiiaafEEvNS_24const_host_device_scalarIT1_EES3_bbbT3_S4_llPKT2_PKS4_PKT4_PKT5_llPT6_ll16rocsparse_order_21rocsparse_index_base_,"axG",@progbits,_ZN9rocsparse31csrmmnn_row_split_shared_kernelILj256ELj8EfiiaafEEvNS_24const_host_device_scalarIT1_EES3_bbbT3_S4_llPKT2_PKS4_PKT4_PKT5_llPT6_ll16rocsparse_order_21rocsparse_index_base_,comdat
.Lfunc_end18:
	.size	_ZN9rocsparse31csrmmnn_row_split_shared_kernelILj256ELj8EfiiaafEEvNS_24const_host_device_scalarIT1_EES3_bbbT3_S4_llPKT2_PKS4_PKT4_PKT5_llPT6_ll16rocsparse_order_21rocsparse_index_base_, .Lfunc_end18-_ZN9rocsparse31csrmmnn_row_split_shared_kernelILj256ELj8EfiiaafEEvNS_24const_host_device_scalarIT1_EES3_bbbT3_S4_llPKT2_PKS4_PKT4_PKT5_llPT6_ll16rocsparse_order_21rocsparse_index_base_
                                        ; -- End function
	.set _ZN9rocsparse31csrmmnn_row_split_shared_kernelILj256ELj8EfiiaafEEvNS_24const_host_device_scalarIT1_EES3_bbbT3_S4_llPKT2_PKS4_PKT4_PKT5_llPT6_ll16rocsparse_order_21rocsparse_index_base_.num_vgpr, 29
	.set _ZN9rocsparse31csrmmnn_row_split_shared_kernelILj256ELj8EfiiaafEEvNS_24const_host_device_scalarIT1_EES3_bbbT3_S4_llPKT2_PKS4_PKT4_PKT5_llPT6_ll16rocsparse_order_21rocsparse_index_base_.num_agpr, 0
	.set _ZN9rocsparse31csrmmnn_row_split_shared_kernelILj256ELj8EfiiaafEEvNS_24const_host_device_scalarIT1_EES3_bbbT3_S4_llPKT2_PKS4_PKT4_PKT5_llPT6_ll16rocsparse_order_21rocsparse_index_base_.numbered_sgpr, 27
	.set _ZN9rocsparse31csrmmnn_row_split_shared_kernelILj256ELj8EfiiaafEEvNS_24const_host_device_scalarIT1_EES3_bbbT3_S4_llPKT2_PKS4_PKT4_PKT5_llPT6_ll16rocsparse_order_21rocsparse_index_base_.num_named_barrier, 0
	.set _ZN9rocsparse31csrmmnn_row_split_shared_kernelILj256ELj8EfiiaafEEvNS_24const_host_device_scalarIT1_EES3_bbbT3_S4_llPKT2_PKS4_PKT4_PKT5_llPT6_ll16rocsparse_order_21rocsparse_index_base_.private_seg_size, 0
	.set _ZN9rocsparse31csrmmnn_row_split_shared_kernelILj256ELj8EfiiaafEEvNS_24const_host_device_scalarIT1_EES3_bbbT3_S4_llPKT2_PKS4_PKT4_PKT5_llPT6_ll16rocsparse_order_21rocsparse_index_base_.uses_vcc, 1
	.set _ZN9rocsparse31csrmmnn_row_split_shared_kernelILj256ELj8EfiiaafEEvNS_24const_host_device_scalarIT1_EES3_bbbT3_S4_llPKT2_PKS4_PKT4_PKT5_llPT6_ll16rocsparse_order_21rocsparse_index_base_.uses_flat_scratch, 0
	.set _ZN9rocsparse31csrmmnn_row_split_shared_kernelILj256ELj8EfiiaafEEvNS_24const_host_device_scalarIT1_EES3_bbbT3_S4_llPKT2_PKS4_PKT4_PKT5_llPT6_ll16rocsparse_order_21rocsparse_index_base_.has_dyn_sized_stack, 0
	.set _ZN9rocsparse31csrmmnn_row_split_shared_kernelILj256ELj8EfiiaafEEvNS_24const_host_device_scalarIT1_EES3_bbbT3_S4_llPKT2_PKS4_PKT4_PKT5_llPT6_ll16rocsparse_order_21rocsparse_index_base_.has_recursion, 0
	.set _ZN9rocsparse31csrmmnn_row_split_shared_kernelILj256ELj8EfiiaafEEvNS_24const_host_device_scalarIT1_EES3_bbbT3_S4_llPKT2_PKS4_PKT4_PKT5_llPT6_ll16rocsparse_order_21rocsparse_index_base_.has_indirect_call, 0
	.section	.AMDGPU.csdata,"",@progbits
; Kernel info:
; codeLenInByte = 1736
; TotalNumSgprs: 29
; NumVgprs: 29
; ScratchSize: 0
; MemoryBound: 0
; FloatMode: 240
; IeeeMode: 1
; LDSByteSize: 2048 bytes/workgroup (compile time only)
; SGPRBlocks: 0
; VGPRBlocks: 3
; NumSGPRsForWavesPerEU: 29
; NumVGPRsForWavesPerEU: 29
; Occupancy: 16
; WaveLimiterHint : 1
; COMPUTE_PGM_RSRC2:SCRATCH_EN: 0
; COMPUTE_PGM_RSRC2:USER_SGPR: 2
; COMPUTE_PGM_RSRC2:TRAP_HANDLER: 0
; COMPUTE_PGM_RSRC2:TGID_X_EN: 1
; COMPUTE_PGM_RSRC2:TGID_Y_EN: 1
; COMPUTE_PGM_RSRC2:TGID_Z_EN: 1
; COMPUTE_PGM_RSRC2:TIDIG_COMP_CNT: 0
	.section	.text._ZN9rocsparse31csrmmnn_row_split_shared_kernelILj256ELj8EfliaafEEvNS_24const_host_device_scalarIT1_EES3_bbbT3_S4_llPKT2_PKS4_PKT4_PKT5_llPT6_ll16rocsparse_order_21rocsparse_index_base_,"axG",@progbits,_ZN9rocsparse31csrmmnn_row_split_shared_kernelILj256ELj8EfliaafEEvNS_24const_host_device_scalarIT1_EES3_bbbT3_S4_llPKT2_PKS4_PKT4_PKT5_llPT6_ll16rocsparse_order_21rocsparse_index_base_,comdat
	.protected	_ZN9rocsparse31csrmmnn_row_split_shared_kernelILj256ELj8EfliaafEEvNS_24const_host_device_scalarIT1_EES3_bbbT3_S4_llPKT2_PKS4_PKT4_PKT5_llPT6_ll16rocsparse_order_21rocsparse_index_base_ ; -- Begin function _ZN9rocsparse31csrmmnn_row_split_shared_kernelILj256ELj8EfliaafEEvNS_24const_host_device_scalarIT1_EES3_bbbT3_S4_llPKT2_PKS4_PKT4_PKT5_llPT6_ll16rocsparse_order_21rocsparse_index_base_
	.globl	_ZN9rocsparse31csrmmnn_row_split_shared_kernelILj256ELj8EfliaafEEvNS_24const_host_device_scalarIT1_EES3_bbbT3_S4_llPKT2_PKS4_PKT4_PKT5_llPT6_ll16rocsparse_order_21rocsparse_index_base_
	.p2align	8
	.type	_ZN9rocsparse31csrmmnn_row_split_shared_kernelILj256ELj8EfliaafEEvNS_24const_host_device_scalarIT1_EES3_bbbT3_S4_llPKT2_PKS4_PKT4_PKT5_llPT6_ll16rocsparse_order_21rocsparse_index_base_,@function
_ZN9rocsparse31csrmmnn_row_split_shared_kernelILj256ELj8EfliaafEEvNS_24const_host_device_scalarIT1_EES3_bbbT3_S4_llPKT2_PKS4_PKT4_PKT5_llPT6_ll16rocsparse_order_21rocsparse_index_base_: ; @_ZN9rocsparse31csrmmnn_row_split_shared_kernelILj256ELj8EfliaafEEvNS_24const_host_device_scalarIT1_EES3_bbbT3_S4_llPKT2_PKS4_PKT4_PKT5_llPT6_ll16rocsparse_order_21rocsparse_index_base_
; %bb.0:
	s_clause 0x1
	s_load_b96 s[24:26], s[0:1], 0x10
	s_load_b128 s[20:23], s[0:1], 0x0
	s_wait_kmcnt 0x0
	s_bitcmp1_b32 s24, 0
	s_cselect_b32 s2, -1, 0
	s_delay_alu instid0(SALU_CYCLE_1)
	s_and_b32 vcc_lo, exec_lo, s2
	s_xor_b32 s2, s2, -1
	s_cbranch_vccnz .LBB19_2
; %bb.1:
	s_load_b32 s20, s[20:21], 0x0
.LBB19_2:
	s_and_not1_b32 vcc_lo, exec_lo, s2
	s_cbranch_vccnz .LBB19_4
; %bb.3:
	s_load_b32 s22, s[22:23], 0x0
.LBB19_4:
	s_wait_kmcnt 0x0
	s_cmp_eq_f32 s20, 0
	s_cselect_b32 s2, -1, 0
	s_cmp_eq_f32 s22, 1.0
	s_cselect_b32 s3, -1, 0
	s_delay_alu instid0(SALU_CYCLE_1) | instskip(NEXT) | instid1(SALU_CYCLE_1)
	s_and_b32 s2, s2, s3
	s_and_b32 vcc_lo, exec_lo, s2
	s_cbranch_vccnz .LBB19_21
; %bb.5:
	v_lshl_or_b32 v1, ttmp9, 8, v0
	s_mov_b32 s2, exec_lo
	s_delay_alu instid0(VALU_DEP_1) | instskip(NEXT) | instid1(VALU_DEP_1)
	v_lshrrev_b32_e32 v8, 3, v1
	v_cmpx_gt_i32_e64 s25, v8
	s_cbranch_execz .LBB19_21
; %bb.6:
	s_load_b512 s[4:19], s[0:1], 0x20
	s_mov_b32 s25, 0
	s_lshr_b32 s24, ttmp7, 16
	v_lshlrev_b32_e32 v1, 3, v8
	v_dual_mov_b32 v11, 0 :: v_dual_and_b32 v10, 7, v0
	s_wait_kmcnt 0x0
	s_wait_alu 0xfffe
	s_mul_u64 s[2:3], s[4:5], s[24:25]
	s_load_b64 s[4:5], s[0:1], 0x78
	s_lshl_b64 s[2:3], s[2:3], 3
	s_delay_alu instid0(SALU_CYCLE_1) | instskip(SKIP_3) | instid1(SALU_CYCLE_1)
	s_add_nc_u64 s[2:3], s[8:9], s[2:3]
	s_mov_b32 s8, exec_lo
	global_load_b128 v[1:4], v1, s[2:3]
	s_and_b32 s2, ttmp7, 0xffff
	v_lshl_or_b32 v9, s2, 3, v10
	s_wait_loadcnt 0x0
	v_cmpx_lt_i64_e64 v[1:2], v[3:4]
	s_cbranch_execz .LBB19_14
; %bb.7:
	s_delay_alu instid0(VALU_DEP_2) | instskip(SKIP_3) | instid1(VALU_DEP_1)
	v_mad_co_u64_u32 v[5:6], null, s16, v9, s[14:15]
	v_mad_co_u64_u32 v[12:13], null, s6, s24, v[1:2]
	s_wait_kmcnt 0x0
	v_sub_co_u32 v3, vcc_lo, v3, s5
	v_subrev_co_ci_u32_e64 v4, null, 0, v4, vcc_lo
	s_delay_alu instid0(VALU_DEP_4) | instskip(NEXT) | instid1(VALU_DEP_4)
	v_mad_co_u64_u32 v[6:7], null, s17, v9, v[6:7]
	v_dual_mov_b32 v7, v13 :: v_dual_lshlrev_b32 v0, 2, v0
	v_sub_co_u32 v1, vcc_lo, v1, s5
	s_wait_alu 0xfffd
	v_subrev_co_ci_u32_e64 v2, null, 0, v2, vcc_lo
	s_delay_alu instid0(VALU_DEP_3)
	v_mad_co_u64_u32 v[13:14], null, s7, s24, v[7:8]
	v_add_co_u32 v12, vcc_lo, v12, v10
	v_mad_co_u64_u32 v[5:6], null, s18, s24, v[5:6]
	v_lshlrev_b32_e32 v7, 2, v10
	v_dual_mov_b32 v11, 0 :: v_dual_and_b32 v0, 0x3e0, v0
	s_wait_alu 0xfffd
	v_add_co_ci_u32_e64 v14, null, 0, v13, vcc_lo
	v_sub_co_u32 v13, vcc_lo, v12, s5
	v_mad_co_u64_u32 v[17:18], null, s19, s24, v[6:7]
	s_wait_alu 0xfffd
	s_delay_alu instid0(VALU_DEP_3) | instskip(SKIP_3) | instid1(VALU_DEP_3)
	v_subrev_co_ci_u32_e64 v14, null, 0, v14, vcc_lo
	v_or_b32_e32 v12, 0x400, v0
	s_mul_u64 s[2:3], s[6:7], s[24:25]
	v_cmp_gt_i32_e32 vcc_lo, s26, v9
	v_lshlrev_b64_e32 v[15:16], 2, v[13:14]
	s_wait_alu 0xfffe
	s_add_nc_u64 s[6:7], s[12:13], s[2:3]
	v_or_b32_e32 v13, v0, v7
	v_or_b32_e32 v14, v12, v7
	s_delay_alu instid0(VALU_DEP_3)
	v_add_co_u32 v6, s2, s10, v15
	s_wait_alu 0xf1ff
	v_add_co_ci_u32_e64 v7, null, s11, v16, s2
	s_wait_alu 0xfffe
	v_add_co_u32 v16, s2, s6, v10
	v_mov_b32_e32 v15, v17
	s_wait_alu 0xf1ff
	v_add_co_ci_u32_e64 v17, null, s7, 0, s2
	s_mov_b32 s6, s25
	s_branch .LBB19_9
.LBB19_8:                               ;   in Loop: Header=BB19_9 Depth=1
	s_wait_alu 0xfffe
	s_or_b32 exec_lo, exec_lo, s3
	v_add_co_u32 v1, s2, v1, 8
	s_wait_alu 0xf1ff
	v_add_co_ci_u32_e64 v2, null, 0, v2, s2
	v_add_co_u32 v6, s3, v6, 32
	s_wait_alu 0xf1ff
	v_add_co_ci_u32_e64 v7, null, 0, v7, s3
	s_delay_alu instid0(VALU_DEP_3)
	v_cmp_ge_i64_e64 s2, v[1:2], v[3:4]
	s_or_b32 s6, s2, s6
	s_wait_alu 0xfffe
	s_and_not1_b32 exec_lo, exec_lo, s6
	s_cbranch_execz .LBB19_13
.LBB19_9:                               ; =>This Inner Loop Header: Depth=1
	v_add_co_u32 v18, s2, v10, v1
	s_wait_alu 0xf1ff
	v_add_co_ci_u32_e64 v19, null, 0, v2, s2
	s_barrier_signal -1
	s_barrier_wait -1
	s_delay_alu instid0(VALU_DEP_1)
	v_cmp_lt_i64_e64 s2, v[18:19], v[3:4]
	v_dual_mov_b32 v18, 0 :: v_dual_mov_b32 v19, 0
	global_inv scope:SCOPE_SE
	s_and_saveexec_b32 s3, s2
	s_cbranch_execz .LBB19_11
; %bb.10:                               ;   in Loop: Header=BB19_9 Depth=1
	v_add_co_u32 v18, s2, v16, v1
	s_wait_alu 0xf1ff
	v_add_co_ci_u32_e64 v19, null, v17, v2, s2
	global_load_b32 v20, v[6:7], off
	global_load_i8 v19, v[18:19], off
	s_wait_loadcnt 0x1
	v_subrev_nc_u32_e32 v18, s5, v20
	s_wait_loadcnt 0x0
	v_cvt_f32_i32_e32 v19, v19
.LBB19_11:                              ;   in Loop: Header=BB19_9 Depth=1
	s_wait_alu 0xfffe
	s_or_b32 exec_lo, exec_lo, s3
	ds_store_b32 v13, v18
	ds_store_b32 v14, v19
	s_wait_loadcnt_dscnt 0x0
	s_barrier_signal -1
	s_barrier_wait -1
	global_inv scope:SCOPE_SE
	s_and_saveexec_b32 s3, vcc_lo
	s_cbranch_execz .LBB19_8
; %bb.12:                               ;   in Loop: Header=BB19_9 Depth=1
	ds_load_b128 v[18:21], v0
	ds_load_b128 v[22:25], v0 offset:16
	s_wait_dscnt 0x1
	v_ashrrev_i32_e32 v27, 31, v18
	v_add_co_u32 v26, s2, v5, v18
	v_ashrrev_i32_e32 v28, 31, v19
	v_ashrrev_i32_e32 v29, 31, v20
	s_wait_alu 0xf1ff
	v_add_co_ci_u32_e64 v27, null, v15, v27, s2
	v_add_co_u32 v18, s2, v5, v19
	s_wait_alu 0xf1ff
	v_add_co_ci_u32_e64 v19, null, v15, v28, s2
	global_load_i8 v28, v[26:27], off
	v_add_co_u32 v26, s2, v5, v20
	s_wait_alu 0xf1ff
	v_add_co_ci_u32_e64 v27, null, v15, v29, s2
	v_ashrrev_i32_e32 v30, 31, v21
	global_load_i8 v29, v[18:19], off
	s_wait_dscnt 0x0
	v_ashrrev_i32_e32 v31, 31, v22
	global_load_i8 v26, v[26:27], off
	v_add_co_u32 v18, s2, v5, v21
	s_wait_alu 0xf1ff
	v_add_co_ci_u32_e64 v19, null, v15, v30, s2
	v_add_co_u32 v20, s2, v5, v22
	s_wait_alu 0xf1ff
	v_add_co_ci_u32_e64 v21, null, v15, v31, s2
	v_ashrrev_i32_e32 v32, 31, v23
	v_ashrrev_i32_e32 v33, 31, v24
	s_clause 0x1
	global_load_i8 v27, v[18:19], off
	global_load_i8 v30, v[20:21], off
	v_add_co_u32 v18, s2, v5, v23
	s_wait_alu 0xf1ff
	v_add_co_ci_u32_e64 v19, null, v15, v32, s2
	v_add_co_u32 v20, s2, v5, v24
	s_wait_alu 0xf1ff
	v_add_co_ci_u32_e64 v21, null, v15, v33, s2
	s_clause 0x1
	global_load_i8 v31, v[18:19], off
	global_load_i8 v32, v[20:21], off
	v_ashrrev_i32_e32 v19, 31, v25
	v_add_co_u32 v18, s2, v5, v25
	ds_load_b128 v[22:25], v12 offset:16
	s_wait_alu 0xf1ff
	v_add_co_ci_u32_e64 v19, null, v15, v19, s2
	global_load_i8 v33, v[18:19], off
	ds_load_b128 v[18:21], v12
	s_wait_loadcnt 0x7
	v_cvt_f32_i32_e32 v28, v28
	s_wait_dscnt 0x0
	s_delay_alu instid0(VALU_DEP_1) | instskip(SKIP_4) | instid1(VALU_DEP_2)
	v_fmac_f32_e32 v11, v18, v28
	s_wait_loadcnt 0x6
	v_cvt_f32_i32_e32 v29, v29
	s_wait_loadcnt 0x5
	v_cvt_f32_i32_e32 v18, v26
	v_fmac_f32_e32 v11, v19, v29
	s_delay_alu instid0(VALU_DEP_1) | instskip(SKIP_4) | instid1(VALU_DEP_2)
	v_fmac_f32_e32 v11, v20, v18
	s_wait_loadcnt 0x4
	v_cvt_f32_i32_e32 v19, v27
	s_wait_loadcnt 0x3
	v_cvt_f32_i32_e32 v18, v30
	v_fmac_f32_e32 v11, v21, v19
	s_wait_loadcnt 0x2
	v_cvt_f32_i32_e32 v19, v31
	s_delay_alu instid0(VALU_DEP_2) | instskip(SKIP_2) | instid1(VALU_DEP_2)
	v_fmac_f32_e32 v11, v22, v18
	s_wait_loadcnt 0x1
	v_cvt_f32_i32_e32 v18, v32
	v_fmac_f32_e32 v11, v23, v19
	s_delay_alu instid0(VALU_DEP_1) | instskip(SKIP_2) | instid1(VALU_DEP_1)
	v_fmac_f32_e32 v11, v24, v18
	s_wait_loadcnt 0x0
	v_cvt_f32_i32_e32 v18, v33
	v_fmac_f32_e32 v11, v25, v18
	s_branch .LBB19_8
.LBB19_13:
	s_or_b32 exec_lo, exec_lo, s6
.LBB19_14:
	s_delay_alu instid0(SALU_CYCLE_1)
	s_or_b32 exec_lo, exec_lo, s8
	v_cmp_gt_i32_e32 vcc_lo, s26, v9
	s_and_b32 exec_lo, exec_lo, vcc_lo
	s_cbranch_execz .LBB19_21
; %bb.15:
	s_clause 0x1
	s_load_b64 s[8:9], s[0:1], 0x70
	s_load_b128 s[0:3], s[0:1], 0x60
	s_wait_kmcnt 0x0
	s_cmp_lg_u32 s4, 1
	v_mul_f32_e32 v0, s20, v11
	s_cselect_b32 s6, -1, 0
	s_cmp_neq_f32 s22, 0
	s_mul_u64 s[4:5], s[8:9], s[24:25]
	s_cbranch_scc0 .LBB19_22
; %bb.16:
	s_wait_alu 0xfffe
	s_and_b32 vcc_lo, exec_lo, s6
	s_mov_b32 s7, -1
	s_wait_alu 0xfffe
	s_cbranch_vccz .LBB19_18
; %bb.17:
	v_mad_co_u64_u32 v[1:2], null, s2, v8, 0
	s_lshl_b64 s[8:9], s[4:5], 2
	s_mov_b32 s7, 0
	v_mad_co_u64_u32 v[2:3], null, s3, v8, v[2:3]
	v_lshlrev_b32_e32 v3, 2, v9
	s_delay_alu instid0(VALU_DEP_2) | instskip(NEXT) | instid1(VALU_DEP_1)
	v_lshlrev_b64_e32 v[1:2], 2, v[1:2]
	v_add_co_u32 v1, vcc_lo, s0, v1
	s_wait_alu 0xfffd
	s_delay_alu instid0(VALU_DEP_2) | instskip(NEXT) | instid1(VALU_DEP_2)
	v_add_co_ci_u32_e64 v2, null, s1, v2, vcc_lo
	v_add_co_u32 v1, vcc_lo, v1, v3
	s_wait_alu 0xfffd
	s_delay_alu instid0(VALU_DEP_2) | instskip(NEXT) | instid1(VALU_DEP_2)
	v_add_co_ci_u32_e64 v2, null, 0, v2, vcc_lo
	v_add_co_u32 v1, vcc_lo, v1, s8
	s_wait_alu 0xfffd
	s_delay_alu instid0(VALU_DEP_2)
	v_add_co_ci_u32_e64 v2, null, s9, v2, vcc_lo
	global_load_b32 v3, v[1:2], off
	s_wait_loadcnt 0x0
	v_fma_f32 v3, s22, v3, v0
	global_store_b32 v[1:2], v3, off
.LBB19_18:
	s_wait_alu 0xfffe
	s_and_not1_b32 vcc_lo, exec_lo, s7
	s_wait_alu 0xfffe
	s_cbranch_vccnz .LBB19_20
; %bb.19:
	v_mad_co_u64_u32 v[1:2], null, s2, v9, 0
	s_lshl_b64 s[8:9], s[4:5], 2
	v_mad_co_u64_u32 v[2:3], null, s3, v9, v[2:3]
	v_lshlrev_b32_e32 v3, 2, v8
	s_delay_alu instid0(VALU_DEP_2) | instskip(NEXT) | instid1(VALU_DEP_1)
	v_lshlrev_b64_e32 v[1:2], 2, v[1:2]
	v_add_co_u32 v1, vcc_lo, s0, v1
	s_wait_alu 0xfffd
	s_delay_alu instid0(VALU_DEP_2) | instskip(NEXT) | instid1(VALU_DEP_2)
	v_add_co_ci_u32_e64 v2, null, s1, v2, vcc_lo
	v_add_co_u32 v1, vcc_lo, v1, v3
	s_wait_alu 0xfffd
	s_delay_alu instid0(VALU_DEP_2) | instskip(SKIP_1) | instid1(VALU_DEP_2)
	v_add_co_ci_u32_e64 v2, null, 0, v2, vcc_lo
	s_wait_alu 0xfffe
	v_add_co_u32 v1, vcc_lo, v1, s8
	s_wait_alu 0xfffd
	s_delay_alu instid0(VALU_DEP_2)
	v_add_co_ci_u32_e64 v2, null, s9, v2, vcc_lo
	global_load_b32 v3, v[1:2], off
	s_wait_loadcnt 0x0
	v_fma_f32 v3, s22, v3, v0
	global_store_b32 v[1:2], v3, off
.LBB19_20:
	s_cbranch_execz .LBB19_23
.LBB19_21:
	s_endpgm
.LBB19_22:
.LBB19_23:
	s_wait_alu 0xfffe
	s_and_b32 vcc_lo, exec_lo, s6
	s_mov_b32 s6, -1
	s_wait_alu 0xfffe
	s_cbranch_vccz .LBB19_25
; %bb.24:
	v_mad_co_u64_u32 v[1:2], null, s2, v8, 0
	s_lshl_b64 s[6:7], s[4:5], 2
	v_mad_co_u64_u32 v[2:3], null, s3, v8, v[2:3]
	v_lshlrev_b32_e32 v3, 2, v9
	s_delay_alu instid0(VALU_DEP_2) | instskip(NEXT) | instid1(VALU_DEP_1)
	v_lshlrev_b64_e32 v[1:2], 2, v[1:2]
	v_add_co_u32 v1, vcc_lo, s0, v1
	s_wait_alu 0xfffd
	s_delay_alu instid0(VALU_DEP_2) | instskip(NEXT) | instid1(VALU_DEP_2)
	v_add_co_ci_u32_e64 v2, null, s1, v2, vcc_lo
	v_add_co_u32 v1, vcc_lo, v1, v3
	s_wait_alu 0xfffd
	s_delay_alu instid0(VALU_DEP_2) | instskip(SKIP_1) | instid1(VALU_DEP_2)
	v_add_co_ci_u32_e64 v2, null, 0, v2, vcc_lo
	s_wait_alu 0xfffe
	v_add_co_u32 v1, vcc_lo, v1, s6
	s_wait_alu 0xfffd
	s_delay_alu instid0(VALU_DEP_2)
	v_add_co_ci_u32_e64 v2, null, s7, v2, vcc_lo
	s_mov_b32 s6, 0
	global_store_b32 v[1:2], v0, off
.LBB19_25:
	s_wait_alu 0xfffe
	s_and_not1_b32 vcc_lo, exec_lo, s6
	s_wait_alu 0xfffe
	s_cbranch_vccnz .LBB19_21
; %bb.26:
	v_mad_co_u64_u32 v[1:2], null, s2, v9, 0
	s_delay_alu instid0(VALU_DEP_1) | instskip(SKIP_1) | instid1(VALU_DEP_2)
	v_mad_co_u64_u32 v[2:3], null, s3, v9, v[2:3]
	v_lshlrev_b32_e32 v3, 2, v8
	v_lshlrev_b64_e32 v[1:2], 2, v[1:2]
	s_delay_alu instid0(VALU_DEP_1) | instskip(SKIP_1) | instid1(VALU_DEP_2)
	v_add_co_u32 v1, vcc_lo, s0, v1
	s_wait_alu 0xfffd
	v_add_co_ci_u32_e64 v2, null, s1, v2, vcc_lo
	s_lshl_b64 s[0:1], s[4:5], 2
	v_add_co_u32 v1, vcc_lo, v1, v3
	s_wait_alu 0xfffd
	v_add_co_ci_u32_e64 v2, null, 0, v2, vcc_lo
	s_wait_alu 0xfffe
	s_delay_alu instid0(VALU_DEP_2) | instskip(SKIP_1) | instid1(VALU_DEP_2)
	v_add_co_u32 v1, vcc_lo, v1, s0
	s_wait_alu 0xfffd
	v_add_co_ci_u32_e64 v2, null, s1, v2, vcc_lo
	global_store_b32 v[1:2], v0, off
	s_endpgm
	.section	.rodata,"a",@progbits
	.p2align	6, 0x0
	.amdhsa_kernel _ZN9rocsparse31csrmmnn_row_split_shared_kernelILj256ELj8EfliaafEEvNS_24const_host_device_scalarIT1_EES3_bbbT3_S4_llPKT2_PKS4_PKT4_PKT5_llPT6_ll16rocsparse_order_21rocsparse_index_base_
		.amdhsa_group_segment_fixed_size 2048
		.amdhsa_private_segment_fixed_size 0
		.amdhsa_kernarg_size 128
		.amdhsa_user_sgpr_count 2
		.amdhsa_user_sgpr_dispatch_ptr 0
		.amdhsa_user_sgpr_queue_ptr 0
		.amdhsa_user_sgpr_kernarg_segment_ptr 1
		.amdhsa_user_sgpr_dispatch_id 0
		.amdhsa_user_sgpr_private_segment_size 0
		.amdhsa_wavefront_size32 1
		.amdhsa_uses_dynamic_stack 0
		.amdhsa_enable_private_segment 0
		.amdhsa_system_sgpr_workgroup_id_x 1
		.amdhsa_system_sgpr_workgroup_id_y 1
		.amdhsa_system_sgpr_workgroup_id_z 1
		.amdhsa_system_sgpr_workgroup_info 0
		.amdhsa_system_vgpr_workitem_id 0
		.amdhsa_next_free_vgpr 34
		.amdhsa_next_free_sgpr 27
		.amdhsa_reserve_vcc 1
		.amdhsa_float_round_mode_32 0
		.amdhsa_float_round_mode_16_64 0
		.amdhsa_float_denorm_mode_32 3
		.amdhsa_float_denorm_mode_16_64 3
		.amdhsa_fp16_overflow 0
		.amdhsa_workgroup_processor_mode 1
		.amdhsa_memory_ordered 1
		.amdhsa_forward_progress 1
		.amdhsa_inst_pref_size 15
		.amdhsa_round_robin_scheduling 0
		.amdhsa_exception_fp_ieee_invalid_op 0
		.amdhsa_exception_fp_denorm_src 0
		.amdhsa_exception_fp_ieee_div_zero 0
		.amdhsa_exception_fp_ieee_overflow 0
		.amdhsa_exception_fp_ieee_underflow 0
		.amdhsa_exception_fp_ieee_inexact 0
		.amdhsa_exception_int_div_zero 0
	.end_amdhsa_kernel
	.section	.text._ZN9rocsparse31csrmmnn_row_split_shared_kernelILj256ELj8EfliaafEEvNS_24const_host_device_scalarIT1_EES3_bbbT3_S4_llPKT2_PKS4_PKT4_PKT5_llPT6_ll16rocsparse_order_21rocsparse_index_base_,"axG",@progbits,_ZN9rocsparse31csrmmnn_row_split_shared_kernelILj256ELj8EfliaafEEvNS_24const_host_device_scalarIT1_EES3_bbbT3_S4_llPKT2_PKS4_PKT4_PKT5_llPT6_ll16rocsparse_order_21rocsparse_index_base_,comdat
.Lfunc_end19:
	.size	_ZN9rocsparse31csrmmnn_row_split_shared_kernelILj256ELj8EfliaafEEvNS_24const_host_device_scalarIT1_EES3_bbbT3_S4_llPKT2_PKS4_PKT4_PKT5_llPT6_ll16rocsparse_order_21rocsparse_index_base_, .Lfunc_end19-_ZN9rocsparse31csrmmnn_row_split_shared_kernelILj256ELj8EfliaafEEvNS_24const_host_device_scalarIT1_EES3_bbbT3_S4_llPKT2_PKS4_PKT4_PKT5_llPT6_ll16rocsparse_order_21rocsparse_index_base_
                                        ; -- End function
	.set _ZN9rocsparse31csrmmnn_row_split_shared_kernelILj256ELj8EfliaafEEvNS_24const_host_device_scalarIT1_EES3_bbbT3_S4_llPKT2_PKS4_PKT4_PKT5_llPT6_ll16rocsparse_order_21rocsparse_index_base_.num_vgpr, 34
	.set _ZN9rocsparse31csrmmnn_row_split_shared_kernelILj256ELj8EfliaafEEvNS_24const_host_device_scalarIT1_EES3_bbbT3_S4_llPKT2_PKS4_PKT4_PKT5_llPT6_ll16rocsparse_order_21rocsparse_index_base_.num_agpr, 0
	.set _ZN9rocsparse31csrmmnn_row_split_shared_kernelILj256ELj8EfliaafEEvNS_24const_host_device_scalarIT1_EES3_bbbT3_S4_llPKT2_PKS4_PKT4_PKT5_llPT6_ll16rocsparse_order_21rocsparse_index_base_.numbered_sgpr, 27
	.set _ZN9rocsparse31csrmmnn_row_split_shared_kernelILj256ELj8EfliaafEEvNS_24const_host_device_scalarIT1_EES3_bbbT3_S4_llPKT2_PKS4_PKT4_PKT5_llPT6_ll16rocsparse_order_21rocsparse_index_base_.num_named_barrier, 0
	.set _ZN9rocsparse31csrmmnn_row_split_shared_kernelILj256ELj8EfliaafEEvNS_24const_host_device_scalarIT1_EES3_bbbT3_S4_llPKT2_PKS4_PKT4_PKT5_llPT6_ll16rocsparse_order_21rocsparse_index_base_.private_seg_size, 0
	.set _ZN9rocsparse31csrmmnn_row_split_shared_kernelILj256ELj8EfliaafEEvNS_24const_host_device_scalarIT1_EES3_bbbT3_S4_llPKT2_PKS4_PKT4_PKT5_llPT6_ll16rocsparse_order_21rocsparse_index_base_.uses_vcc, 1
	.set _ZN9rocsparse31csrmmnn_row_split_shared_kernelILj256ELj8EfliaafEEvNS_24const_host_device_scalarIT1_EES3_bbbT3_S4_llPKT2_PKS4_PKT4_PKT5_llPT6_ll16rocsparse_order_21rocsparse_index_base_.uses_flat_scratch, 0
	.set _ZN9rocsparse31csrmmnn_row_split_shared_kernelILj256ELj8EfliaafEEvNS_24const_host_device_scalarIT1_EES3_bbbT3_S4_llPKT2_PKS4_PKT4_PKT5_llPT6_ll16rocsparse_order_21rocsparse_index_base_.has_dyn_sized_stack, 0
	.set _ZN9rocsparse31csrmmnn_row_split_shared_kernelILj256ELj8EfliaafEEvNS_24const_host_device_scalarIT1_EES3_bbbT3_S4_llPKT2_PKS4_PKT4_PKT5_llPT6_ll16rocsparse_order_21rocsparse_index_base_.has_recursion, 0
	.set _ZN9rocsparse31csrmmnn_row_split_shared_kernelILj256ELj8EfliaafEEvNS_24const_host_device_scalarIT1_EES3_bbbT3_S4_llPKT2_PKS4_PKT4_PKT5_llPT6_ll16rocsparse_order_21rocsparse_index_base_.has_indirect_call, 0
	.section	.AMDGPU.csdata,"",@progbits
; Kernel info:
; codeLenInByte = 1912
; TotalNumSgprs: 29
; NumVgprs: 34
; ScratchSize: 0
; MemoryBound: 0
; FloatMode: 240
; IeeeMode: 1
; LDSByteSize: 2048 bytes/workgroup (compile time only)
; SGPRBlocks: 0
; VGPRBlocks: 4
; NumSGPRsForWavesPerEU: 29
; NumVGPRsForWavesPerEU: 34
; Occupancy: 16
; WaveLimiterHint : 1
; COMPUTE_PGM_RSRC2:SCRATCH_EN: 0
; COMPUTE_PGM_RSRC2:USER_SGPR: 2
; COMPUTE_PGM_RSRC2:TRAP_HANDLER: 0
; COMPUTE_PGM_RSRC2:TGID_X_EN: 1
; COMPUTE_PGM_RSRC2:TGID_Y_EN: 1
; COMPUTE_PGM_RSRC2:TGID_Z_EN: 1
; COMPUTE_PGM_RSRC2:TIDIG_COMP_CNT: 0
	.section	.text._ZN9rocsparse31csrmmnn_row_split_shared_kernelILj256ELj8EfllaafEEvNS_24const_host_device_scalarIT1_EES3_bbbT3_S4_llPKT2_PKS4_PKT4_PKT5_llPT6_ll16rocsparse_order_21rocsparse_index_base_,"axG",@progbits,_ZN9rocsparse31csrmmnn_row_split_shared_kernelILj256ELj8EfllaafEEvNS_24const_host_device_scalarIT1_EES3_bbbT3_S4_llPKT2_PKS4_PKT4_PKT5_llPT6_ll16rocsparse_order_21rocsparse_index_base_,comdat
	.protected	_ZN9rocsparse31csrmmnn_row_split_shared_kernelILj256ELj8EfllaafEEvNS_24const_host_device_scalarIT1_EES3_bbbT3_S4_llPKT2_PKS4_PKT4_PKT5_llPT6_ll16rocsparse_order_21rocsparse_index_base_ ; -- Begin function _ZN9rocsparse31csrmmnn_row_split_shared_kernelILj256ELj8EfllaafEEvNS_24const_host_device_scalarIT1_EES3_bbbT3_S4_llPKT2_PKS4_PKT4_PKT5_llPT6_ll16rocsparse_order_21rocsparse_index_base_
	.globl	_ZN9rocsparse31csrmmnn_row_split_shared_kernelILj256ELj8EfllaafEEvNS_24const_host_device_scalarIT1_EES3_bbbT3_S4_llPKT2_PKS4_PKT4_PKT5_llPT6_ll16rocsparse_order_21rocsparse_index_base_
	.p2align	8
	.type	_ZN9rocsparse31csrmmnn_row_split_shared_kernelILj256ELj8EfllaafEEvNS_24const_host_device_scalarIT1_EES3_bbbT3_S4_llPKT2_PKS4_PKT4_PKT5_llPT6_ll16rocsparse_order_21rocsparse_index_base_,@function
_ZN9rocsparse31csrmmnn_row_split_shared_kernelILj256ELj8EfllaafEEvNS_24const_host_device_scalarIT1_EES3_bbbT3_S4_llPKT2_PKS4_PKT4_PKT5_llPT6_ll16rocsparse_order_21rocsparse_index_base_: ; @_ZN9rocsparse31csrmmnn_row_split_shared_kernelILj256ELj8EfllaafEEvNS_24const_host_device_scalarIT1_EES3_bbbT3_S4_llPKT2_PKS4_PKT4_PKT5_llPT6_ll16rocsparse_order_21rocsparse_index_base_
; %bb.0:
	s_clause 0x1
	s_load_b32 s2, s[0:1], 0x10
	s_load_b128 s[28:31], s[0:1], 0x0
	s_wait_kmcnt 0x0
	s_bitcmp1_b32 s2, 0
	s_cselect_b32 s2, -1, 0
	s_delay_alu instid0(SALU_CYCLE_1)
	s_and_b32 vcc_lo, exec_lo, s2
	s_xor_b32 s2, s2, -1
	s_cbranch_vccnz .LBB20_2
; %bb.1:
	s_load_b32 s28, s[28:29], 0x0
.LBB20_2:
	s_and_not1_b32 vcc_lo, exec_lo, s2
	s_cbranch_vccnz .LBB20_4
; %bb.3:
	s_load_b32 s30, s[30:31], 0x0
.LBB20_4:
	s_wait_kmcnt 0x0
	s_cmp_eq_f32 s28, 0
	s_cselect_b32 s2, -1, 0
	s_cmp_eq_f32 s30, 1.0
	s_cselect_b32 s3, -1, 0
	s_delay_alu instid0(SALU_CYCLE_1) | instskip(NEXT) | instid1(SALU_CYCLE_1)
	s_and_b32 s2, s2, s3
	s_and_b32 vcc_lo, exec_lo, s2
	s_cbranch_vccnz .LBB20_21
; %bb.5:
	s_load_b512 s[4:19], s[0:1], 0x18
	v_lshl_or_b32 v1, ttmp9, 8, v0
	v_mov_b32_e32 v6, 0
	s_mov_b32 s2, exec_lo
	s_delay_alu instid0(VALU_DEP_2) | instskip(SKIP_1) | instid1(VALU_DEP_1)
	v_lshrrev_b32_e32 v5, 3, v1
	s_wait_kmcnt 0x0
	v_cmpx_gt_i64_e64 s[4:5], v[5:6]
	s_cbranch_execz .LBB20_21
; %bb.6:
	s_mov_b32 s3, 0
	s_lshr_b32 s2, ttmp7, 16
	v_dual_mov_b32 v8, v6 :: v_dual_lshlrev_b32 v1, 3, v5
	s_mul_u64 s[4:5], s[8:9], s[2:3]
	v_and_b32_e32 v14, 7, v0
	s_wait_alu 0xfffe
	s_lshl_b64 s[4:5], s[4:5], 3
	s_wait_alu 0xfffe
	s_add_nc_u64 s[4:5], s[12:13], s[4:5]
	global_load_b128 v[1:4], v1, s[4:5]
	s_clause 0x1
	s_load_b256 s[20:27], s[0:1], 0x58
	s_load_b128 s[36:39], s[0:1], 0x78
	s_and_b32 s0, ttmp7, 0xffff
	s_mov_b32 s4, exec_lo
	s_wait_alu 0xfffe
	v_lshl_or_b32 v7, s0, 3, v14
	s_wait_loadcnt 0x0
	v_cmpx_lt_i64_e64 v[1:2], v[3:4]
	s_cbranch_execz .LBB20_14
; %bb.7:
	s_wait_kmcnt 0x0
	v_mad_co_u64_u32 v[9:10], null, s20, v7, s[18:19]
	v_mad_co_u64_u32 v[11:12], null, s10, s2, v[1:2]
	v_sub_co_u32 v3, vcc_lo, v3, s39
	s_delay_alu instid0(VALU_DEP_1) | instskip(NEXT) | instid1(VALU_DEP_4)
	v_subrev_co_ci_u32_e64 v4, null, 0, v4, vcc_lo
	v_mov_b32_e32 v6, v10
	s_mul_u64 s[0:1], s[10:11], s[2:3]
	s_delay_alu instid0(VALU_DEP_4)
	v_mov_b32_e32 v10, v12
	s_wait_alu 0xfffe
	s_add_nc_u64 s[8:9], s[16:17], s[0:1]
	s_mov_b32 s5, s3
	v_mad_co_u64_u32 v[12:13], null, s21, v7, v[6:7]
	v_mad_co_u64_u32 v[15:16], null, s11, s2, v[10:11]
	v_lshrrev_b32_e32 v13, 3, v0
	v_sub_co_u32 v0, vcc_lo, v1, s39
	s_wait_alu 0xfffd
	v_subrev_co_ci_u32_e64 v1, null, 0, v2, vcc_lo
	v_add_co_u32 v2, vcc_lo, v11, v14
	v_mov_b32_e32 v10, v12
	s_wait_alu 0xfffd
	v_add_co_ci_u32_e64 v12, null, 0, v15, vcc_lo
	s_delay_alu instid0(VALU_DEP_3) | instskip(NEXT) | instid1(VALU_DEP_3)
	v_sub_co_u32 v11, vcc_lo, v2, s39
	v_mad_co_u64_u32 v[9:10], null, s22, s2, v[9:10]
	s_wait_alu 0xfffd
	s_delay_alu instid0(VALU_DEP_3) | instskip(SKIP_3) | instid1(VALU_DEP_4)
	v_subrev_co_ci_u32_e64 v12, null, 0, v12, vcc_lo
	v_lshlrev_b32_e32 v2, 6, v13
	v_lshl_or_b32 v15, v13, 5, 0x800
	v_mov_b32_e32 v6, 0
	v_lshlrev_b64_e32 v[11:12], 3, v[11:12]
	v_cmp_gt_i64_e32 vcc_lo, s[6:7], v[7:8]
	v_lshl_or_b32 v16, v14, 3, v2
	v_lshl_or_b32 v17, v14, 2, v15
	s_delay_alu instid0(VALU_DEP_4)
	v_mad_co_u64_u32 v[18:19], null, s23, s2, v[10:11]
	v_add_co_u32 v10, s0, s14, v11
	s_wait_alu 0xf1ff
	v_add_co_ci_u32_e64 v11, null, s15, v12, s0
	v_add_co_u32 v19, s0, s8, v14
	s_wait_alu 0xf1ff
	v_add_co_ci_u32_e64 v20, null, s9, 0, s0
	s_mov_b32 s8, s39
	s_branch .LBB20_9
.LBB20_8:                               ;   in Loop: Header=BB20_9 Depth=1
	s_wait_alu 0xfffe
	s_or_b32 exec_lo, exec_lo, s1
	v_add_co_u32 v0, s0, v0, 8
	s_wait_alu 0xf1ff
	v_add_co_ci_u32_e64 v1, null, 0, v1, s0
	v_add_co_u32 v10, s1, v10, 64
	s_wait_alu 0xf1ff
	v_add_co_ci_u32_e64 v11, null, 0, v11, s1
	s_delay_alu instid0(VALU_DEP_3)
	v_cmp_ge_i64_e64 s0, v[0:1], v[3:4]
	s_or_b32 s5, s0, s5
	s_wait_alu 0xfffe
	s_and_not1_b32 exec_lo, exec_lo, s5
	s_cbranch_execz .LBB20_13
.LBB20_9:                               ; =>This Inner Loop Header: Depth=1
	v_add_co_u32 v12, s0, v14, v0
	s_wait_alu 0xf1ff
	v_add_co_ci_u32_e64 v13, null, 0, v1, s0
	s_barrier_signal -1
	s_barrier_wait -1
	s_delay_alu instid0(VALU_DEP_1)
	v_cmp_lt_i64_e64 s0, v[12:13], v[3:4]
	v_dual_mov_b32 v12, 0 :: v_dual_mov_b32 v21, 0
	v_mov_b32_e32 v13, 0
	global_inv scope:SCOPE_SE
	s_and_saveexec_b32 s1, s0
	s_cbranch_execz .LBB20_11
; %bb.10:                               ;   in Loop: Header=BB20_9 Depth=1
	v_add_co_u32 v12, s0, v19, v0
	s_wait_alu 0xf1ff
	v_add_co_ci_u32_e64 v13, null, v20, v1, s0
	global_load_b64 v[21:22], v[10:11], off
	global_load_i8 v23, v[12:13], off
	s_wait_loadcnt 0x1
	s_wait_alu 0xfffe
	v_sub_co_u32 v12, s0, v21, s8
	s_wait_alu 0xf1ff
	v_subrev_co_ci_u32_e64 v13, null, 0, v22, s0
	s_wait_loadcnt 0x0
	v_cvt_f32_i32_e32 v21, v23
.LBB20_11:                              ;   in Loop: Header=BB20_9 Depth=1
	s_wait_alu 0xfffe
	s_or_b32 exec_lo, exec_lo, s1
	ds_store_b64 v16, v[12:13]
	ds_store_b32 v17, v21
	s_wait_loadcnt_dscnt 0x0
	s_barrier_signal -1
	s_barrier_wait -1
	global_inv scope:SCOPE_SE
	s_and_saveexec_b32 s1, vcc_lo
	s_cbranch_execz .LBB20_8
; %bb.12:                               ;   in Loop: Header=BB20_9 Depth=1
	ds_load_b128 v[21:24], v2
	ds_load_b128 v[25:28], v2 offset:16
	ds_load_b128 v[29:32], v2 offset:32
	;; [unrolled: 1-line block ×3, first 2 shown]
	s_wait_dscnt 0x3
	v_add_co_u32 v12, s0, v9, v21
	s_wait_alu 0xf1ff
	v_add_co_ci_u32_e64 v13, null, v18, v22, s0
	v_add_co_u32 v21, s0, v9, v23
	s_wait_alu 0xf1ff
	v_add_co_ci_u32_e64 v22, null, v18, v24, s0
	s_clause 0x1
	global_load_i8 v37, v[12:13], off
	global_load_i8 v38, v[21:22], off
	s_wait_dscnt 0x2
	v_add_co_u32 v12, s0, v9, v25
	s_wait_alu 0xf1ff
	v_add_co_ci_u32_e64 v13, null, v18, v26, s0
	v_add_co_u32 v21, s0, v9, v27
	s_wait_alu 0xf1ff
	v_add_co_ci_u32_e64 v22, null, v18, v28, s0
	global_load_i8 v39, v[12:13], off
	s_wait_dscnt 0x1
	v_add_co_u32 v12, s0, v9, v29
	s_wait_alu 0xf1ff
	v_add_co_ci_u32_e64 v13, null, v18, v30, s0
	s_clause 0x1
	global_load_i8 v29, v[21:22], off
	global_load_i8 v30, v[12:13], off
	v_add_co_u32 v21, s0, v9, v31
	s_wait_alu 0xf1ff
	v_add_co_ci_u32_e64 v22, null, v18, v32, s0
	s_wait_dscnt 0x0
	v_add_co_u32 v12, s0, v9, v33
	s_wait_alu 0xf1ff
	v_add_co_ci_u32_e64 v13, null, v18, v34, s0
	s_clause 0x1
	global_load_i8 v31, v[21:22], off
	global_load_i8 v32, v[12:13], off
	v_add_co_u32 v12, s0, v9, v35
	s_wait_alu 0xf1ff
	v_add_co_ci_u32_e64 v13, null, v18, v36, s0
	ds_load_b128 v[21:24], v15
	ds_load_b128 v[25:28], v15 offset:16
	global_load_i8 v12, v[12:13], off
	s_wait_loadcnt 0x7
	v_cvt_f32_i32_e32 v13, v37
	s_wait_loadcnt 0x6
	v_cvt_f32_i32_e32 v33, v38
	s_wait_dscnt 0x1
	s_delay_alu instid0(VALU_DEP_2) | instskip(NEXT) | instid1(VALU_DEP_1)
	v_fmac_f32_e32 v6, v21, v13
	v_fmac_f32_e32 v6, v22, v33
	s_wait_loadcnt 0x5
	v_cvt_f32_i32_e32 v13, v39
	s_wait_loadcnt 0x4
	v_cvt_f32_i32_e32 v21, v29
	s_delay_alu instid0(VALU_DEP_2) | instskip(SKIP_2) | instid1(VALU_DEP_2)
	v_fmac_f32_e32 v6, v23, v13
	s_wait_loadcnt 0x3
	v_cvt_f32_i32_e32 v13, v30
	v_fmac_f32_e32 v6, v24, v21
	s_wait_dscnt 0x0
	s_delay_alu instid0(VALU_DEP_1) | instskip(SKIP_4) | instid1(VALU_DEP_2)
	v_fmac_f32_e32 v6, v25, v13
	s_wait_loadcnt 0x2
	v_cvt_f32_i32_e32 v21, v31
	s_wait_loadcnt 0x1
	v_cvt_f32_i32_e32 v13, v32
	v_fmac_f32_e32 v6, v26, v21
	s_wait_loadcnt 0x0
	v_cvt_f32_i32_e32 v12, v12
	s_delay_alu instid0(VALU_DEP_2) | instskip(NEXT) | instid1(VALU_DEP_1)
	v_fmac_f32_e32 v6, v27, v13
	v_fmac_f32_e32 v6, v28, v12
	s_branch .LBB20_8
.LBB20_13:
	s_or_b32 exec_lo, exec_lo, s5
.LBB20_14:
	s_delay_alu instid0(SALU_CYCLE_1)
	s_or_b32 exec_lo, exec_lo, s4
	v_cmp_gt_i64_e32 vcc_lo, s[6:7], v[7:8]
	s_and_b32 exec_lo, exec_lo, vcc_lo
	s_cbranch_execz .LBB20_21
; %bb.15:
	s_wait_kmcnt 0x0
	s_cmp_lg_u32 s38, 1
	v_mul_f32_e32 v0, s28, v6
	s_cselect_b32 s4, -1, 0
	s_cmp_neq_f32 s30, 0
	s_mul_u64 s[0:1], s[36:37], s[2:3]
	s_cbranch_scc0 .LBB20_22
; %bb.16:
	s_wait_alu 0xfffe
	s_and_b32 vcc_lo, exec_lo, s4
	s_mov_b32 s2, -1
	s_wait_alu 0xfffe
	s_cbranch_vccz .LBB20_18
; %bb.17:
	v_mad_co_u64_u32 v[1:2], null, s26, v5, 0
	s_lshl_b64 s[2:3], s[0:1], 2
	v_mad_co_u64_u32 v[2:3], null, s27, v5, v[2:3]
	v_lshlrev_b32_e32 v3, 2, v7
	s_delay_alu instid0(VALU_DEP_2) | instskip(NEXT) | instid1(VALU_DEP_1)
	v_lshlrev_b64_e32 v[1:2], 2, v[1:2]
	v_add_co_u32 v1, vcc_lo, s24, v1
	s_wait_alu 0xfffd
	s_delay_alu instid0(VALU_DEP_2) | instskip(NEXT) | instid1(VALU_DEP_2)
	v_add_co_ci_u32_e64 v2, null, s25, v2, vcc_lo
	v_add_co_u32 v1, vcc_lo, v1, v3
	s_wait_alu 0xfffd
	s_delay_alu instid0(VALU_DEP_2) | instskip(SKIP_1) | instid1(VALU_DEP_2)
	v_add_co_ci_u32_e64 v2, null, 0, v2, vcc_lo
	s_wait_alu 0xfffe
	v_add_co_u32 v1, vcc_lo, v1, s2
	s_wait_alu 0xfffd
	s_delay_alu instid0(VALU_DEP_2)
	v_add_co_ci_u32_e64 v2, null, s3, v2, vcc_lo
	s_mov_b32 s2, 0
	global_load_b32 v3, v[1:2], off
	s_wait_loadcnt 0x0
	v_fma_f32 v3, s30, v3, v0
	global_store_b32 v[1:2], v3, off
.LBB20_18:
	s_wait_alu 0xfffe
	s_and_not1_b32 vcc_lo, exec_lo, s2
	s_wait_alu 0xfffe
	s_cbranch_vccnz .LBB20_20
; %bb.19:
	v_mad_co_u64_u32 v[1:2], null, s26, v7, 0
	s_lshl_b64 s[2:3], s[0:1], 2
	v_mad_co_u64_u32 v[2:3], null, s27, v7, v[2:3]
	v_lshlrev_b32_e32 v3, 2, v5
	s_delay_alu instid0(VALU_DEP_2) | instskip(NEXT) | instid1(VALU_DEP_1)
	v_lshlrev_b64_e32 v[1:2], 2, v[1:2]
	v_add_co_u32 v1, vcc_lo, s24, v1
	s_wait_alu 0xfffd
	s_delay_alu instid0(VALU_DEP_2) | instskip(NEXT) | instid1(VALU_DEP_2)
	v_add_co_ci_u32_e64 v2, null, s25, v2, vcc_lo
	v_add_co_u32 v1, vcc_lo, v1, v3
	s_wait_alu 0xfffd
	s_delay_alu instid0(VALU_DEP_2) | instskip(SKIP_1) | instid1(VALU_DEP_2)
	v_add_co_ci_u32_e64 v2, null, 0, v2, vcc_lo
	s_wait_alu 0xfffe
	v_add_co_u32 v1, vcc_lo, v1, s2
	s_wait_alu 0xfffd
	s_delay_alu instid0(VALU_DEP_2)
	v_add_co_ci_u32_e64 v2, null, s3, v2, vcc_lo
	global_load_b32 v3, v[1:2], off
	s_wait_loadcnt 0x0
	v_fma_f32 v3, s30, v3, v0
	global_store_b32 v[1:2], v3, off
.LBB20_20:
	s_cbranch_execz .LBB20_23
.LBB20_21:
	s_endpgm
.LBB20_22:
.LBB20_23:
	s_wait_alu 0xfffe
	s_and_b32 vcc_lo, exec_lo, s4
	s_mov_b32 s2, -1
	s_wait_alu 0xfffe
	s_cbranch_vccz .LBB20_25
; %bb.24:
	v_mad_co_u64_u32 v[1:2], null, s26, v5, 0
	s_lshl_b64 s[2:3], s[0:1], 2
	v_mad_co_u64_u32 v[2:3], null, s27, v5, v[2:3]
	v_lshlrev_b32_e32 v3, 2, v7
	s_delay_alu instid0(VALU_DEP_2) | instskip(NEXT) | instid1(VALU_DEP_1)
	v_lshlrev_b64_e32 v[1:2], 2, v[1:2]
	v_add_co_u32 v1, vcc_lo, s24, v1
	s_wait_alu 0xfffd
	s_delay_alu instid0(VALU_DEP_2) | instskip(NEXT) | instid1(VALU_DEP_2)
	v_add_co_ci_u32_e64 v2, null, s25, v2, vcc_lo
	v_add_co_u32 v1, vcc_lo, v1, v3
	s_wait_alu 0xfffd
	s_delay_alu instid0(VALU_DEP_2) | instskip(SKIP_1) | instid1(VALU_DEP_2)
	v_add_co_ci_u32_e64 v2, null, 0, v2, vcc_lo
	s_wait_alu 0xfffe
	v_add_co_u32 v1, vcc_lo, v1, s2
	s_wait_alu 0xfffd
	s_delay_alu instid0(VALU_DEP_2)
	v_add_co_ci_u32_e64 v2, null, s3, v2, vcc_lo
	s_mov_b32 s2, 0
	global_store_b32 v[1:2], v0, off
.LBB20_25:
	s_wait_alu 0xfffe
	s_and_not1_b32 vcc_lo, exec_lo, s2
	s_wait_alu 0xfffe
	s_cbranch_vccnz .LBB20_21
; %bb.26:
	v_mad_co_u64_u32 v[1:2], null, s26, v7, 0
	s_lshl_b64 s[0:1], s[0:1], 2
	v_mad_co_u64_u32 v[2:3], null, s27, v7, v[2:3]
	v_lshlrev_b32_e32 v3, 2, v5
	s_delay_alu instid0(VALU_DEP_2) | instskip(NEXT) | instid1(VALU_DEP_1)
	v_lshlrev_b64_e32 v[1:2], 2, v[1:2]
	v_add_co_u32 v1, vcc_lo, s24, v1
	s_wait_alu 0xfffd
	s_delay_alu instid0(VALU_DEP_2) | instskip(NEXT) | instid1(VALU_DEP_2)
	v_add_co_ci_u32_e64 v2, null, s25, v2, vcc_lo
	v_add_co_u32 v1, vcc_lo, v1, v3
	s_wait_alu 0xfffd
	s_delay_alu instid0(VALU_DEP_2) | instskip(SKIP_1) | instid1(VALU_DEP_2)
	v_add_co_ci_u32_e64 v2, null, 0, v2, vcc_lo
	s_wait_alu 0xfffe
	v_add_co_u32 v1, vcc_lo, v1, s0
	s_wait_alu 0xfffd
	s_delay_alu instid0(VALU_DEP_2)
	v_add_co_ci_u32_e64 v2, null, s1, v2, vcc_lo
	global_store_b32 v[1:2], v0, off
	s_endpgm
	.section	.rodata,"a",@progbits
	.p2align	6, 0x0
	.amdhsa_kernel _ZN9rocsparse31csrmmnn_row_split_shared_kernelILj256ELj8EfllaafEEvNS_24const_host_device_scalarIT1_EES3_bbbT3_S4_llPKT2_PKS4_PKT4_PKT5_llPT6_ll16rocsparse_order_21rocsparse_index_base_
		.amdhsa_group_segment_fixed_size 3072
		.amdhsa_private_segment_fixed_size 0
		.amdhsa_kernarg_size 136
		.amdhsa_user_sgpr_count 2
		.amdhsa_user_sgpr_dispatch_ptr 0
		.amdhsa_user_sgpr_queue_ptr 0
		.amdhsa_user_sgpr_kernarg_segment_ptr 1
		.amdhsa_user_sgpr_dispatch_id 0
		.amdhsa_user_sgpr_private_segment_size 0
		.amdhsa_wavefront_size32 1
		.amdhsa_uses_dynamic_stack 0
		.amdhsa_enable_private_segment 0
		.amdhsa_system_sgpr_workgroup_id_x 1
		.amdhsa_system_sgpr_workgroup_id_y 1
		.amdhsa_system_sgpr_workgroup_id_z 1
		.amdhsa_system_sgpr_workgroup_info 0
		.amdhsa_system_vgpr_workitem_id 0
		.amdhsa_next_free_vgpr 40
		.amdhsa_next_free_sgpr 40
		.amdhsa_reserve_vcc 1
		.amdhsa_float_round_mode_32 0
		.amdhsa_float_round_mode_16_64 0
		.amdhsa_float_denorm_mode_32 3
		.amdhsa_float_denorm_mode_16_64 3
		.amdhsa_fp16_overflow 0
		.amdhsa_workgroup_processor_mode 1
		.amdhsa_memory_ordered 1
		.amdhsa_forward_progress 1
		.amdhsa_inst_pref_size 16
		.amdhsa_round_robin_scheduling 0
		.amdhsa_exception_fp_ieee_invalid_op 0
		.amdhsa_exception_fp_denorm_src 0
		.amdhsa_exception_fp_ieee_div_zero 0
		.amdhsa_exception_fp_ieee_overflow 0
		.amdhsa_exception_fp_ieee_underflow 0
		.amdhsa_exception_fp_ieee_inexact 0
		.amdhsa_exception_int_div_zero 0
	.end_amdhsa_kernel
	.section	.text._ZN9rocsparse31csrmmnn_row_split_shared_kernelILj256ELj8EfllaafEEvNS_24const_host_device_scalarIT1_EES3_bbbT3_S4_llPKT2_PKS4_PKT4_PKT5_llPT6_ll16rocsparse_order_21rocsparse_index_base_,"axG",@progbits,_ZN9rocsparse31csrmmnn_row_split_shared_kernelILj256ELj8EfllaafEEvNS_24const_host_device_scalarIT1_EES3_bbbT3_S4_llPKT2_PKS4_PKT4_PKT5_llPT6_ll16rocsparse_order_21rocsparse_index_base_,comdat
.Lfunc_end20:
	.size	_ZN9rocsparse31csrmmnn_row_split_shared_kernelILj256ELj8EfllaafEEvNS_24const_host_device_scalarIT1_EES3_bbbT3_S4_llPKT2_PKS4_PKT4_PKT5_llPT6_ll16rocsparse_order_21rocsparse_index_base_, .Lfunc_end20-_ZN9rocsparse31csrmmnn_row_split_shared_kernelILj256ELj8EfllaafEEvNS_24const_host_device_scalarIT1_EES3_bbbT3_S4_llPKT2_PKS4_PKT4_PKT5_llPT6_ll16rocsparse_order_21rocsparse_index_base_
                                        ; -- End function
	.set _ZN9rocsparse31csrmmnn_row_split_shared_kernelILj256ELj8EfllaafEEvNS_24const_host_device_scalarIT1_EES3_bbbT3_S4_llPKT2_PKS4_PKT4_PKT5_llPT6_ll16rocsparse_order_21rocsparse_index_base_.num_vgpr, 40
	.set _ZN9rocsparse31csrmmnn_row_split_shared_kernelILj256ELj8EfllaafEEvNS_24const_host_device_scalarIT1_EES3_bbbT3_S4_llPKT2_PKS4_PKT4_PKT5_llPT6_ll16rocsparse_order_21rocsparse_index_base_.num_agpr, 0
	.set _ZN9rocsparse31csrmmnn_row_split_shared_kernelILj256ELj8EfllaafEEvNS_24const_host_device_scalarIT1_EES3_bbbT3_S4_llPKT2_PKS4_PKT4_PKT5_llPT6_ll16rocsparse_order_21rocsparse_index_base_.numbered_sgpr, 40
	.set _ZN9rocsparse31csrmmnn_row_split_shared_kernelILj256ELj8EfllaafEEvNS_24const_host_device_scalarIT1_EES3_bbbT3_S4_llPKT2_PKS4_PKT4_PKT5_llPT6_ll16rocsparse_order_21rocsparse_index_base_.num_named_barrier, 0
	.set _ZN9rocsparse31csrmmnn_row_split_shared_kernelILj256ELj8EfllaafEEvNS_24const_host_device_scalarIT1_EES3_bbbT3_S4_llPKT2_PKS4_PKT4_PKT5_llPT6_ll16rocsparse_order_21rocsparse_index_base_.private_seg_size, 0
	.set _ZN9rocsparse31csrmmnn_row_split_shared_kernelILj256ELj8EfllaafEEvNS_24const_host_device_scalarIT1_EES3_bbbT3_S4_llPKT2_PKS4_PKT4_PKT5_llPT6_ll16rocsparse_order_21rocsparse_index_base_.uses_vcc, 1
	.set _ZN9rocsparse31csrmmnn_row_split_shared_kernelILj256ELj8EfllaafEEvNS_24const_host_device_scalarIT1_EES3_bbbT3_S4_llPKT2_PKS4_PKT4_PKT5_llPT6_ll16rocsparse_order_21rocsparse_index_base_.uses_flat_scratch, 0
	.set _ZN9rocsparse31csrmmnn_row_split_shared_kernelILj256ELj8EfllaafEEvNS_24const_host_device_scalarIT1_EES3_bbbT3_S4_llPKT2_PKS4_PKT4_PKT5_llPT6_ll16rocsparse_order_21rocsparse_index_base_.has_dyn_sized_stack, 0
	.set _ZN9rocsparse31csrmmnn_row_split_shared_kernelILj256ELj8EfllaafEEvNS_24const_host_device_scalarIT1_EES3_bbbT3_S4_llPKT2_PKS4_PKT4_PKT5_llPT6_ll16rocsparse_order_21rocsparse_index_base_.has_recursion, 0
	.set _ZN9rocsparse31csrmmnn_row_split_shared_kernelILj256ELj8EfllaafEEvNS_24const_host_device_scalarIT1_EES3_bbbT3_S4_llPKT2_PKS4_PKT4_PKT5_llPT6_ll16rocsparse_order_21rocsparse_index_base_.has_indirect_call, 0
	.section	.AMDGPU.csdata,"",@progbits
; Kernel info:
; codeLenInByte = 1952
; TotalNumSgprs: 42
; NumVgprs: 40
; ScratchSize: 0
; MemoryBound: 0
; FloatMode: 240
; IeeeMode: 1
; LDSByteSize: 3072 bytes/workgroup (compile time only)
; SGPRBlocks: 0
; VGPRBlocks: 4
; NumSGPRsForWavesPerEU: 42
; NumVGPRsForWavesPerEU: 40
; Occupancy: 16
; WaveLimiterHint : 0
; COMPUTE_PGM_RSRC2:SCRATCH_EN: 0
; COMPUTE_PGM_RSRC2:USER_SGPR: 2
; COMPUTE_PGM_RSRC2:TRAP_HANDLER: 0
; COMPUTE_PGM_RSRC2:TGID_X_EN: 1
; COMPUTE_PGM_RSRC2:TGID_Y_EN: 1
; COMPUTE_PGM_RSRC2:TGID_Z_EN: 1
; COMPUTE_PGM_RSRC2:TIDIG_COMP_CNT: 0
	.section	.AMDGPU.gpr_maximums,"",@progbits
	.set amdgpu.max_num_vgpr, 0
	.set amdgpu.max_num_agpr, 0
	.set amdgpu.max_num_sgpr, 0
	.section	.AMDGPU.csdata,"",@progbits
	.type	__hip_cuid_9a617b0f8969e0be,@object ; @__hip_cuid_9a617b0f8969e0be
	.section	.bss,"aw",@nobits
	.globl	__hip_cuid_9a617b0f8969e0be
__hip_cuid_9a617b0f8969e0be:
	.byte	0                               ; 0x0
	.size	__hip_cuid_9a617b0f8969e0be, 1

	.ident	"AMD clang version 22.0.0git (https://github.com/RadeonOpenCompute/llvm-project roc-7.2.4 26084 f58b06dce1f9c15707c5f808fd002e18c2accf7e)"
	.section	".note.GNU-stack","",@progbits
	.addrsig
	.addrsig_sym __hip_cuid_9a617b0f8969e0be
	.amdgpu_metadata
---
amdhsa.kernels:
  - .args:
      - .offset:         0
        .size:           8
        .value_kind:     by_value
      - .offset:         8
        .size:           8
        .value_kind:     by_value
      - .offset:         16
        .size:           1
        .value_kind:     by_value
      - .offset:         17
        .size:           1
        .value_kind:     by_value
      - .offset:         18
        .size:           1
        .value_kind:     by_value
      - .offset:         20
        .size:           4
        .value_kind:     by_value
      - .offset:         24
        .size:           4
        .value_kind:     by_value
      - .offset:         32
        .size:           8
        .value_kind:     by_value
      - .offset:         40
        .size:           8
        .value_kind:     by_value
      - .address_space:  global
        .offset:         48
        .size:           8
        .value_kind:     global_buffer
      - .address_space:  global
        .offset:         56
        .size:           8
        .value_kind:     global_buffer
      - .address_space:  global
        .offset:         64
        .size:           8
        .value_kind:     global_buffer
      - .address_space:  global
        .offset:         72
        .size:           8
        .value_kind:     global_buffer
      - .offset:         80
        .size:           8
        .value_kind:     by_value
      - .offset:         88
        .size:           8
        .value_kind:     by_value
      - .address_space:  global
        .offset:         96
        .size:           8
        .value_kind:     global_buffer
      - .offset:         104
        .size:           8
        .value_kind:     by_value
      - .offset:         112
        .size:           8
        .value_kind:     by_value
      - .offset:         120
        .size:           4
        .value_kind:     by_value
      - .offset:         124
        .size:           4
        .value_kind:     by_value
    .group_segment_fixed_size: 2048
    .kernarg_segment_align: 8
    .kernarg_segment_size: 128
    .language:       OpenCL C
    .language_version:
      - 2
      - 0
    .max_flat_workgroup_size: 256
    .name:           _ZN9rocsparse31csrmmnn_row_split_shared_kernelILj256ELj8EfiifffEEvNS_24const_host_device_scalarIT1_EES3_bbbT3_S4_llPKT2_PKS4_PKT4_PKT5_llPT6_ll16rocsparse_order_21rocsparse_index_base_
    .private_segment_fixed_size: 0
    .sgpr_count:     29
    .sgpr_spill_count: 0
    .symbol:         _ZN9rocsparse31csrmmnn_row_split_shared_kernelILj256ELj8EfiifffEEvNS_24const_host_device_scalarIT1_EES3_bbbT3_S4_llPKT2_PKS4_PKT4_PKT5_llPT6_ll16rocsparse_order_21rocsparse_index_base_.kd
    .uniform_work_group_size: 1
    .uses_dynamic_stack: false
    .vgpr_count:     29
    .vgpr_spill_count: 0
    .wavefront_size: 32
    .workgroup_processor_mode: 1
  - .args:
      - .offset:         0
        .size:           8
        .value_kind:     by_value
      - .offset:         8
        .size:           8
        .value_kind:     by_value
      - .offset:         16
        .size:           1
        .value_kind:     by_value
      - .offset:         17
        .size:           1
        .value_kind:     by_value
      - .offset:         18
        .size:           1
        .value_kind:     by_value
      - .offset:         20
        .size:           4
        .value_kind:     by_value
      - .offset:         24
        .size:           4
        .value_kind:     by_value
      - .offset:         32
        .size:           8
        .value_kind:     by_value
      - .offset:         40
        .size:           8
        .value_kind:     by_value
      - .address_space:  global
        .offset:         48
        .size:           8
        .value_kind:     global_buffer
      - .address_space:  global
        .offset:         56
        .size:           8
        .value_kind:     global_buffer
      - .address_space:  global
        .offset:         64
        .size:           8
        .value_kind:     global_buffer
      - .address_space:  global
        .offset:         72
        .size:           8
        .value_kind:     global_buffer
      - .offset:         80
        .size:           8
        .value_kind:     by_value
      - .offset:         88
        .size:           8
        .value_kind:     by_value
      - .address_space:  global
        .offset:         96
        .size:           8
        .value_kind:     global_buffer
      - .offset:         104
        .size:           8
        .value_kind:     by_value
      - .offset:         112
        .size:           8
        .value_kind:     by_value
      - .offset:         120
        .size:           4
        .value_kind:     by_value
      - .offset:         124
        .size:           4
        .value_kind:     by_value
    .group_segment_fixed_size: 2048
    .kernarg_segment_align: 8
    .kernarg_segment_size: 128
    .language:       OpenCL C
    .language_version:
      - 2
      - 0
    .max_flat_workgroup_size: 256
    .name:           _ZN9rocsparse31csrmmnn_row_split_shared_kernelILj256ELj8EflifffEEvNS_24const_host_device_scalarIT1_EES3_bbbT3_S4_llPKT2_PKS4_PKT4_PKT5_llPT6_ll16rocsparse_order_21rocsparse_index_base_
    .private_segment_fixed_size: 0
    .sgpr_count:     29
    .sgpr_spill_count: 0
    .symbol:         _ZN9rocsparse31csrmmnn_row_split_shared_kernelILj256ELj8EflifffEEvNS_24const_host_device_scalarIT1_EES3_bbbT3_S4_llPKT2_PKS4_PKT4_PKT5_llPT6_ll16rocsparse_order_21rocsparse_index_base_.kd
    .uniform_work_group_size: 1
    .uses_dynamic_stack: false
    .vgpr_count:     34
    .vgpr_spill_count: 0
    .wavefront_size: 32
    .workgroup_processor_mode: 1
  - .args:
      - .offset:         0
        .size:           8
        .value_kind:     by_value
      - .offset:         8
        .size:           8
        .value_kind:     by_value
      - .offset:         16
        .size:           1
        .value_kind:     by_value
      - .offset:         17
        .size:           1
        .value_kind:     by_value
      - .offset:         18
        .size:           1
        .value_kind:     by_value
      - .offset:         24
        .size:           8
        .value_kind:     by_value
      - .offset:         32
        .size:           8
        .value_kind:     by_value
      - .offset:         40
        .size:           8
        .value_kind:     by_value
      - .offset:         48
        .size:           8
        .value_kind:     by_value
      - .address_space:  global
        .offset:         56
        .size:           8
        .value_kind:     global_buffer
      - .address_space:  global
        .offset:         64
        .size:           8
        .value_kind:     global_buffer
      - .address_space:  global
        .offset:         72
        .size:           8
        .value_kind:     global_buffer
      - .address_space:  global
        .offset:         80
        .size:           8
        .value_kind:     global_buffer
      - .offset:         88
        .size:           8
        .value_kind:     by_value
      - .offset:         96
        .size:           8
        .value_kind:     by_value
      - .address_space:  global
        .offset:         104
        .size:           8
        .value_kind:     global_buffer
      - .offset:         112
        .size:           8
        .value_kind:     by_value
      - .offset:         120
        .size:           8
        .value_kind:     by_value
      - .offset:         128
        .size:           4
        .value_kind:     by_value
      - .offset:         132
        .size:           4
        .value_kind:     by_value
    .group_segment_fixed_size: 3072
    .kernarg_segment_align: 8
    .kernarg_segment_size: 136
    .language:       OpenCL C
    .language_version:
      - 2
      - 0
    .max_flat_workgroup_size: 256
    .name:           _ZN9rocsparse31csrmmnn_row_split_shared_kernelILj256ELj8EfllfffEEvNS_24const_host_device_scalarIT1_EES3_bbbT3_S4_llPKT2_PKS4_PKT4_PKT5_llPT6_ll16rocsparse_order_21rocsparse_index_base_
    .private_segment_fixed_size: 0
    .sgpr_count:     42
    .sgpr_spill_count: 0
    .symbol:         _ZN9rocsparse31csrmmnn_row_split_shared_kernelILj256ELj8EfllfffEEvNS_24const_host_device_scalarIT1_EES3_bbbT3_S4_llPKT2_PKS4_PKT4_PKT5_llPT6_ll16rocsparse_order_21rocsparse_index_base_.kd
    .uniform_work_group_size: 1
    .uses_dynamic_stack: false
    .vgpr_count:     39
    .vgpr_spill_count: 0
    .wavefront_size: 32
    .workgroup_processor_mode: 1
  - .args:
      - .offset:         0
        .size:           8
        .value_kind:     by_value
      - .offset:         8
        .size:           8
        .value_kind:     by_value
      - .offset:         16
        .size:           1
        .value_kind:     by_value
      - .offset:         17
        .size:           1
        .value_kind:     by_value
      - .offset:         18
        .size:           1
        .value_kind:     by_value
      - .offset:         20
        .size:           4
        .value_kind:     by_value
      - .offset:         24
        .size:           4
        .value_kind:     by_value
      - .offset:         32
        .size:           8
        .value_kind:     by_value
      - .offset:         40
        .size:           8
        .value_kind:     by_value
      - .address_space:  global
        .offset:         48
        .size:           8
        .value_kind:     global_buffer
      - .address_space:  global
        .offset:         56
        .size:           8
        .value_kind:     global_buffer
      - .address_space:  global
        .offset:         64
        .size:           8
        .value_kind:     global_buffer
      - .address_space:  global
        .offset:         72
        .size:           8
        .value_kind:     global_buffer
      - .offset:         80
        .size:           8
        .value_kind:     by_value
      - .offset:         88
        .size:           8
        .value_kind:     by_value
      - .address_space:  global
        .offset:         96
        .size:           8
        .value_kind:     global_buffer
      - .offset:         104
        .size:           8
        .value_kind:     by_value
      - .offset:         112
        .size:           8
        .value_kind:     by_value
      - .offset:         120
        .size:           4
        .value_kind:     by_value
      - .offset:         124
        .size:           4
        .value_kind:     by_value
    .group_segment_fixed_size: 3072
    .kernarg_segment_align: 8
    .kernarg_segment_size: 128
    .language:       OpenCL C
    .language_version:
      - 2
      - 0
    .max_flat_workgroup_size: 256
    .name:           _ZN9rocsparse31csrmmnn_row_split_shared_kernelILj256ELj8EdiidddEEvNS_24const_host_device_scalarIT1_EES3_bbbT3_S4_llPKT2_PKS4_PKT4_PKT5_llPT6_ll16rocsparse_order_21rocsparse_index_base_
    .private_segment_fixed_size: 0
    .sgpr_count:     25
    .sgpr_spill_count: 0
    .symbol:         _ZN9rocsparse31csrmmnn_row_split_shared_kernelILj256ELj8EdiidddEEvNS_24const_host_device_scalarIT1_EES3_bbbT3_S4_llPKT2_PKS4_PKT4_PKT5_llPT6_ll16rocsparse_order_21rocsparse_index_base_.kd
    .uniform_work_group_size: 1
    .uses_dynamic_stack: false
    .vgpr_count:     41
    .vgpr_spill_count: 0
    .wavefront_size: 32
    .workgroup_processor_mode: 1
  - .args:
      - .offset:         0
        .size:           8
        .value_kind:     by_value
      - .offset:         8
        .size:           8
        .value_kind:     by_value
      - .offset:         16
        .size:           1
        .value_kind:     by_value
      - .offset:         17
        .size:           1
        .value_kind:     by_value
      - .offset:         18
        .size:           1
        .value_kind:     by_value
      - .offset:         20
        .size:           4
        .value_kind:     by_value
      - .offset:         24
        .size:           4
        .value_kind:     by_value
      - .offset:         32
        .size:           8
        .value_kind:     by_value
      - .offset:         40
        .size:           8
        .value_kind:     by_value
      - .address_space:  global
        .offset:         48
        .size:           8
        .value_kind:     global_buffer
      - .address_space:  global
        .offset:         56
        .size:           8
        .value_kind:     global_buffer
      - .address_space:  global
        .offset:         64
        .size:           8
        .value_kind:     global_buffer
      - .address_space:  global
        .offset:         72
        .size:           8
        .value_kind:     global_buffer
      - .offset:         80
        .size:           8
        .value_kind:     by_value
      - .offset:         88
        .size:           8
        .value_kind:     by_value
      - .address_space:  global
        .offset:         96
        .size:           8
        .value_kind:     global_buffer
      - .offset:         104
        .size:           8
        .value_kind:     by_value
      - .offset:         112
        .size:           8
        .value_kind:     by_value
      - .offset:         120
        .size:           4
        .value_kind:     by_value
      - .offset:         124
        .size:           4
        .value_kind:     by_value
    .group_segment_fixed_size: 3072
    .kernarg_segment_align: 8
    .kernarg_segment_size: 128
    .language:       OpenCL C
    .language_version:
      - 2
      - 0
    .max_flat_workgroup_size: 256
    .name:           _ZN9rocsparse31csrmmnn_row_split_shared_kernelILj256ELj8EdlidddEEvNS_24const_host_device_scalarIT1_EES3_bbbT3_S4_llPKT2_PKS4_PKT4_PKT5_llPT6_ll16rocsparse_order_21rocsparse_index_base_
    .private_segment_fixed_size: 0
    .sgpr_count:     25
    .sgpr_spill_count: 0
    .symbol:         _ZN9rocsparse31csrmmnn_row_split_shared_kernelILj256ELj8EdlidddEEvNS_24const_host_device_scalarIT1_EES3_bbbT3_S4_llPKT2_PKS4_PKT4_PKT5_llPT6_ll16rocsparse_order_21rocsparse_index_base_.kd
    .uniform_work_group_size: 1
    .uses_dynamic_stack: false
    .vgpr_count:     48
    .vgpr_spill_count: 0
    .wavefront_size: 32
    .workgroup_processor_mode: 1
  - .args:
      - .offset:         0
        .size:           8
        .value_kind:     by_value
      - .offset:         8
        .size:           8
        .value_kind:     by_value
      - .offset:         16
        .size:           1
        .value_kind:     by_value
      - .offset:         17
        .size:           1
        .value_kind:     by_value
      - .offset:         18
        .size:           1
        .value_kind:     by_value
      - .offset:         24
        .size:           8
        .value_kind:     by_value
      - .offset:         32
        .size:           8
        .value_kind:     by_value
      - .offset:         40
        .size:           8
        .value_kind:     by_value
      - .offset:         48
        .size:           8
        .value_kind:     by_value
      - .address_space:  global
        .offset:         56
        .size:           8
        .value_kind:     global_buffer
      - .address_space:  global
        .offset:         64
        .size:           8
        .value_kind:     global_buffer
      - .address_space:  global
        .offset:         72
        .size:           8
        .value_kind:     global_buffer
      - .address_space:  global
        .offset:         80
        .size:           8
        .value_kind:     global_buffer
      - .offset:         88
        .size:           8
        .value_kind:     by_value
      - .offset:         96
        .size:           8
        .value_kind:     by_value
      - .address_space:  global
        .offset:         104
        .size:           8
        .value_kind:     global_buffer
      - .offset:         112
        .size:           8
        .value_kind:     by_value
      - .offset:         120
        .size:           8
        .value_kind:     by_value
      - .offset:         128
        .size:           4
        .value_kind:     by_value
      - .offset:         132
        .size:           4
        .value_kind:     by_value
    .group_segment_fixed_size: 4096
    .kernarg_segment_align: 8
    .kernarg_segment_size: 136
    .language:       OpenCL C
    .language_version:
      - 2
      - 0
    .max_flat_workgroup_size: 256
    .name:           _ZN9rocsparse31csrmmnn_row_split_shared_kernelILj256ELj8EdlldddEEvNS_24const_host_device_scalarIT1_EES3_bbbT3_S4_llPKT2_PKS4_PKT4_PKT5_llPT6_ll16rocsparse_order_21rocsparse_index_base_
    .private_segment_fixed_size: 0
    .sgpr_count:     34
    .sgpr_spill_count: 0
    .symbol:         _ZN9rocsparse31csrmmnn_row_split_shared_kernelILj256ELj8EdlldddEEvNS_24const_host_device_scalarIT1_EES3_bbbT3_S4_llPKT2_PKS4_PKT4_PKT5_llPT6_ll16rocsparse_order_21rocsparse_index_base_.kd
    .uniform_work_group_size: 1
    .uses_dynamic_stack: false
    .vgpr_count:     49
    .vgpr_spill_count: 0
    .wavefront_size: 32
    .workgroup_processor_mode: 1
  - .args:
      - .offset:         0
        .size:           8
        .value_kind:     by_value
      - .offset:         8
        .size:           8
        .value_kind:     by_value
      - .offset:         16
        .size:           1
        .value_kind:     by_value
      - .offset:         17
        .size:           1
        .value_kind:     by_value
      - .offset:         18
        .size:           1
        .value_kind:     by_value
      - .offset:         20
        .size:           4
        .value_kind:     by_value
      - .offset:         24
        .size:           4
        .value_kind:     by_value
      - .offset:         32
        .size:           8
        .value_kind:     by_value
      - .offset:         40
        .size:           8
        .value_kind:     by_value
      - .address_space:  global
        .offset:         48
        .size:           8
        .value_kind:     global_buffer
      - .address_space:  global
        .offset:         56
        .size:           8
        .value_kind:     global_buffer
      - .address_space:  global
        .offset:         64
        .size:           8
        .value_kind:     global_buffer
      - .address_space:  global
        .offset:         72
        .size:           8
        .value_kind:     global_buffer
      - .offset:         80
        .size:           8
        .value_kind:     by_value
      - .offset:         88
        .size:           8
        .value_kind:     by_value
      - .address_space:  global
        .offset:         96
        .size:           8
        .value_kind:     global_buffer
      - .offset:         104
        .size:           8
        .value_kind:     by_value
      - .offset:         112
        .size:           8
        .value_kind:     by_value
      - .offset:         120
        .size:           4
        .value_kind:     by_value
      - .offset:         124
        .size:           4
        .value_kind:     by_value
    .group_segment_fixed_size: 3072
    .kernarg_segment_align: 8
    .kernarg_segment_size: 128
    .language:       OpenCL C
    .language_version:
      - 2
      - 0
    .max_flat_workgroup_size: 256
    .name:           _ZN9rocsparse31csrmmnn_row_split_shared_kernelILj256ELj8E21rocsparse_complex_numIfEiiS2_S2_S2_EEvNS_24const_host_device_scalarIT1_EES5_bbbT3_S6_llPKT2_PKS6_PKT4_PKT5_llPT6_ll16rocsparse_order_21rocsparse_index_base_
    .private_segment_fixed_size: 0
    .sgpr_count:     28
    .sgpr_spill_count: 0
    .symbol:         _ZN9rocsparse31csrmmnn_row_split_shared_kernelILj256ELj8E21rocsparse_complex_numIfEiiS2_S2_S2_EEvNS_24const_host_device_scalarIT1_EES5_bbbT3_S6_llPKT2_PKS6_PKT4_PKT5_llPT6_ll16rocsparse_order_21rocsparse_index_base_.kd
    .uniform_work_group_size: 1
    .uses_dynamic_stack: false
    .vgpr_count:     41
    .vgpr_spill_count: 0
    .wavefront_size: 32
    .workgroup_processor_mode: 1
  - .args:
      - .offset:         0
        .size:           8
        .value_kind:     by_value
      - .offset:         8
        .size:           8
        .value_kind:     by_value
      - .offset:         16
        .size:           1
        .value_kind:     by_value
      - .offset:         17
        .size:           1
        .value_kind:     by_value
      - .offset:         18
        .size:           1
        .value_kind:     by_value
      - .offset:         20
        .size:           4
        .value_kind:     by_value
      - .offset:         24
        .size:           4
        .value_kind:     by_value
      - .offset:         32
        .size:           8
        .value_kind:     by_value
      - .offset:         40
        .size:           8
        .value_kind:     by_value
      - .address_space:  global
        .offset:         48
        .size:           8
        .value_kind:     global_buffer
      - .address_space:  global
        .offset:         56
        .size:           8
        .value_kind:     global_buffer
      - .address_space:  global
        .offset:         64
        .size:           8
        .value_kind:     global_buffer
      - .address_space:  global
        .offset:         72
        .size:           8
        .value_kind:     global_buffer
      - .offset:         80
        .size:           8
        .value_kind:     by_value
      - .offset:         88
        .size:           8
        .value_kind:     by_value
      - .address_space:  global
        .offset:         96
        .size:           8
        .value_kind:     global_buffer
      - .offset:         104
        .size:           8
        .value_kind:     by_value
      - .offset:         112
        .size:           8
        .value_kind:     by_value
      - .offset:         120
        .size:           4
        .value_kind:     by_value
      - .offset:         124
        .size:           4
        .value_kind:     by_value
    .group_segment_fixed_size: 3072
    .kernarg_segment_align: 8
    .kernarg_segment_size: 128
    .language:       OpenCL C
    .language_version:
      - 2
      - 0
    .max_flat_workgroup_size: 256
    .name:           _ZN9rocsparse31csrmmnn_row_split_shared_kernelILj256ELj8E21rocsparse_complex_numIfEliS2_S2_S2_EEvNS_24const_host_device_scalarIT1_EES5_bbbT3_S6_llPKT2_PKS6_PKT4_PKT5_llPT6_ll16rocsparse_order_21rocsparse_index_base_
    .private_segment_fixed_size: 0
    .sgpr_count:     28
    .sgpr_spill_count: 0
    .symbol:         _ZN9rocsparse31csrmmnn_row_split_shared_kernelILj256ELj8E21rocsparse_complex_numIfEliS2_S2_S2_EEvNS_24const_host_device_scalarIT1_EES5_bbbT3_S6_llPKT2_PKS6_PKT4_PKT5_llPT6_ll16rocsparse_order_21rocsparse_index_base_.kd
    .uniform_work_group_size: 1
    .uses_dynamic_stack: false
    .vgpr_count:     48
    .vgpr_spill_count: 0
    .wavefront_size: 32
    .workgroup_processor_mode: 1
  - .args:
      - .offset:         0
        .size:           8
        .value_kind:     by_value
      - .offset:         8
        .size:           8
        .value_kind:     by_value
      - .offset:         16
        .size:           1
        .value_kind:     by_value
      - .offset:         17
        .size:           1
        .value_kind:     by_value
      - .offset:         18
        .size:           1
        .value_kind:     by_value
      - .offset:         24
        .size:           8
        .value_kind:     by_value
      - .offset:         32
        .size:           8
        .value_kind:     by_value
      - .offset:         40
        .size:           8
        .value_kind:     by_value
      - .offset:         48
        .size:           8
        .value_kind:     by_value
      - .address_space:  global
        .offset:         56
        .size:           8
        .value_kind:     global_buffer
      - .address_space:  global
        .offset:         64
        .size:           8
        .value_kind:     global_buffer
      - .address_space:  global
        .offset:         72
        .size:           8
        .value_kind:     global_buffer
      - .address_space:  global
        .offset:         80
        .size:           8
        .value_kind:     global_buffer
      - .offset:         88
        .size:           8
        .value_kind:     by_value
      - .offset:         96
        .size:           8
        .value_kind:     by_value
      - .address_space:  global
        .offset:         104
        .size:           8
        .value_kind:     global_buffer
      - .offset:         112
        .size:           8
        .value_kind:     by_value
      - .offset:         120
        .size:           8
        .value_kind:     by_value
      - .offset:         128
        .size:           4
        .value_kind:     by_value
      - .offset:         132
        .size:           4
        .value_kind:     by_value
    .group_segment_fixed_size: 4096
    .kernarg_segment_align: 8
    .kernarg_segment_size: 136
    .language:       OpenCL C
    .language_version:
      - 2
      - 0
    .max_flat_workgroup_size: 256
    .name:           _ZN9rocsparse31csrmmnn_row_split_shared_kernelILj256ELj8E21rocsparse_complex_numIfEllS2_S2_S2_EEvNS_24const_host_device_scalarIT1_EES5_bbbT3_S6_llPKT2_PKS6_PKT4_PKT5_llPT6_ll16rocsparse_order_21rocsparse_index_base_
    .private_segment_fixed_size: 0
    .sgpr_count:     36
    .sgpr_spill_count: 0
    .symbol:         _ZN9rocsparse31csrmmnn_row_split_shared_kernelILj256ELj8E21rocsparse_complex_numIfEllS2_S2_S2_EEvNS_24const_host_device_scalarIT1_EES5_bbbT3_S6_llPKT2_PKS6_PKT4_PKT5_llPT6_ll16rocsparse_order_21rocsparse_index_base_.kd
    .uniform_work_group_size: 1
    .uses_dynamic_stack: false
    .vgpr_count:     49
    .vgpr_spill_count: 0
    .wavefront_size: 32
    .workgroup_processor_mode: 1
  - .args:
      - .offset:         0
        .size:           16
        .value_kind:     by_value
      - .offset:         16
        .size:           16
        .value_kind:     by_value
      - .offset:         32
        .size:           1
        .value_kind:     by_value
      - .offset:         33
        .size:           1
        .value_kind:     by_value
      - .offset:         34
        .size:           1
        .value_kind:     by_value
      - .offset:         36
        .size:           4
        .value_kind:     by_value
      - .offset:         40
        .size:           4
        .value_kind:     by_value
      - .offset:         48
        .size:           8
        .value_kind:     by_value
      - .offset:         56
        .size:           8
        .value_kind:     by_value
      - .address_space:  global
        .offset:         64
        .size:           8
        .value_kind:     global_buffer
      - .address_space:  global
        .offset:         72
        .size:           8
        .value_kind:     global_buffer
      - .address_space:  global
        .offset:         80
        .size:           8
        .value_kind:     global_buffer
      - .address_space:  global
        .offset:         88
        .size:           8
        .value_kind:     global_buffer
      - .offset:         96
        .size:           8
        .value_kind:     by_value
      - .offset:         104
        .size:           8
        .value_kind:     by_value
      - .address_space:  global
        .offset:         112
        .size:           8
        .value_kind:     global_buffer
      - .offset:         120
        .size:           8
        .value_kind:     by_value
      - .offset:         128
        .size:           8
        .value_kind:     by_value
      - .offset:         136
        .size:           4
        .value_kind:     by_value
      - .offset:         140
        .size:           4
        .value_kind:     by_value
    .group_segment_fixed_size: 5120
    .kernarg_segment_align: 8
    .kernarg_segment_size: 144
    .language:       OpenCL C
    .language_version:
      - 2
      - 0
    .max_flat_workgroup_size: 256
    .name:           _ZN9rocsparse31csrmmnn_row_split_shared_kernelILj256ELj8E21rocsparse_complex_numIdEiiS2_S2_S2_EEvNS_24const_host_device_scalarIT1_EES5_bbbT3_S6_llPKT2_PKS6_PKT4_PKT5_llPT6_ll16rocsparse_order_21rocsparse_index_base_
    .private_segment_fixed_size: 0
    .sgpr_count:     28
    .sgpr_spill_count: 0
    .symbol:         _ZN9rocsparse31csrmmnn_row_split_shared_kernelILj256ELj8E21rocsparse_complex_numIdEiiS2_S2_S2_EEvNS_24const_host_device_scalarIT1_EES5_bbbT3_S6_llPKT2_PKS6_PKT4_PKT5_llPT6_ll16rocsparse_order_21rocsparse_index_base_.kd
    .uniform_work_group_size: 1
    .uses_dynamic_stack: false
    .vgpr_count:     56
    .vgpr_spill_count: 0
    .wavefront_size: 32
    .workgroup_processor_mode: 1
  - .args:
      - .offset:         0
        .size:           16
        .value_kind:     by_value
      - .offset:         16
        .size:           16
        .value_kind:     by_value
      - .offset:         32
        .size:           1
        .value_kind:     by_value
      - .offset:         33
        .size:           1
        .value_kind:     by_value
      - .offset:         34
        .size:           1
        .value_kind:     by_value
      - .offset:         36
        .size:           4
        .value_kind:     by_value
      - .offset:         40
        .size:           4
        .value_kind:     by_value
      - .offset:         48
        .size:           8
        .value_kind:     by_value
      - .offset:         56
        .size:           8
        .value_kind:     by_value
      - .address_space:  global
        .offset:         64
        .size:           8
        .value_kind:     global_buffer
      - .address_space:  global
        .offset:         72
        .size:           8
        .value_kind:     global_buffer
      - .address_space:  global
        .offset:         80
        .size:           8
        .value_kind:     global_buffer
      - .address_space:  global
        .offset:         88
        .size:           8
        .value_kind:     global_buffer
      - .offset:         96
        .size:           8
        .value_kind:     by_value
      - .offset:         104
        .size:           8
        .value_kind:     by_value
      - .address_space:  global
        .offset:         112
        .size:           8
        .value_kind:     global_buffer
      - .offset:         120
        .size:           8
        .value_kind:     by_value
      - .offset:         128
        .size:           8
        .value_kind:     by_value
      - .offset:         136
        .size:           4
        .value_kind:     by_value
      - .offset:         140
        .size:           4
        .value_kind:     by_value
    .group_segment_fixed_size: 5120
    .kernarg_segment_align: 8
    .kernarg_segment_size: 144
    .language:       OpenCL C
    .language_version:
      - 2
      - 0
    .max_flat_workgroup_size: 256
    .name:           _ZN9rocsparse31csrmmnn_row_split_shared_kernelILj256ELj8E21rocsparse_complex_numIdEliS2_S2_S2_EEvNS_24const_host_device_scalarIT1_EES5_bbbT3_S6_llPKT2_PKS6_PKT4_PKT5_llPT6_ll16rocsparse_order_21rocsparse_index_base_
    .private_segment_fixed_size: 0
    .sgpr_count:     28
    .sgpr_spill_count: 0
    .symbol:         _ZN9rocsparse31csrmmnn_row_split_shared_kernelILj256ELj8E21rocsparse_complex_numIdEliS2_S2_S2_EEvNS_24const_host_device_scalarIT1_EES5_bbbT3_S6_llPKT2_PKS6_PKT4_PKT5_llPT6_ll16rocsparse_order_21rocsparse_index_base_.kd
    .uniform_work_group_size: 1
    .uses_dynamic_stack: false
    .vgpr_count:     62
    .vgpr_spill_count: 0
    .wavefront_size: 32
    .workgroup_processor_mode: 1
  - .args:
      - .offset:         0
        .size:           16
        .value_kind:     by_value
      - .offset:         16
        .size:           16
        .value_kind:     by_value
      - .offset:         32
        .size:           1
        .value_kind:     by_value
      - .offset:         33
        .size:           1
        .value_kind:     by_value
      - .offset:         34
        .size:           1
        .value_kind:     by_value
      - .offset:         40
        .size:           8
        .value_kind:     by_value
      - .offset:         48
        .size:           8
        .value_kind:     by_value
      - .offset:         56
        .size:           8
        .value_kind:     by_value
      - .offset:         64
        .size:           8
        .value_kind:     by_value
      - .address_space:  global
        .offset:         72
        .size:           8
        .value_kind:     global_buffer
      - .address_space:  global
        .offset:         80
        .size:           8
        .value_kind:     global_buffer
      - .address_space:  global
        .offset:         88
        .size:           8
        .value_kind:     global_buffer
      - .address_space:  global
        .offset:         96
        .size:           8
        .value_kind:     global_buffer
      - .offset:         104
        .size:           8
        .value_kind:     by_value
      - .offset:         112
        .size:           8
        .value_kind:     by_value
      - .address_space:  global
        .offset:         120
        .size:           8
        .value_kind:     global_buffer
      - .offset:         128
        .size:           8
        .value_kind:     by_value
      - .offset:         136
        .size:           8
        .value_kind:     by_value
      - .offset:         144
        .size:           4
        .value_kind:     by_value
      - .offset:         148
        .size:           4
        .value_kind:     by_value
    .group_segment_fixed_size: 6144
    .kernarg_segment_align: 8
    .kernarg_segment_size: 152
    .language:       OpenCL C
    .language_version:
      - 2
      - 0
    .max_flat_workgroup_size: 256
    .name:           _ZN9rocsparse31csrmmnn_row_split_shared_kernelILj256ELj8E21rocsparse_complex_numIdEllS2_S2_S2_EEvNS_24const_host_device_scalarIT1_EES5_bbbT3_S6_llPKT2_PKS6_PKT4_PKT5_llPT6_ll16rocsparse_order_21rocsparse_index_base_
    .private_segment_fixed_size: 0
    .sgpr_count:     34
    .sgpr_spill_count: 0
    .symbol:         _ZN9rocsparse31csrmmnn_row_split_shared_kernelILj256ELj8E21rocsparse_complex_numIdEllS2_S2_S2_EEvNS_24const_host_device_scalarIT1_EES5_bbbT3_S6_llPKT2_PKS6_PKT4_PKT5_llPT6_ll16rocsparse_order_21rocsparse_index_base_.kd
    .uniform_work_group_size: 1
    .uses_dynamic_stack: false
    .vgpr_count:     69
    .vgpr_spill_count: 0
    .wavefront_size: 32
    .workgroup_processor_mode: 1
  - .args:
      - .offset:         0
        .size:           8
        .value_kind:     by_value
      - .offset:         8
        .size:           8
        .value_kind:     by_value
      - .offset:         16
        .size:           1
        .value_kind:     by_value
      - .offset:         17
        .size:           1
        .value_kind:     by_value
      - .offset:         18
        .size:           1
        .value_kind:     by_value
      - .offset:         20
        .size:           4
        .value_kind:     by_value
      - .offset:         24
        .size:           4
        .value_kind:     by_value
      - .offset:         32
        .size:           8
        .value_kind:     by_value
      - .offset:         40
        .size:           8
        .value_kind:     by_value
      - .address_space:  global
        .offset:         48
        .size:           8
        .value_kind:     global_buffer
      - .address_space:  global
        .offset:         56
        .size:           8
        .value_kind:     global_buffer
      - .address_space:  global
        .offset:         64
        .size:           8
        .value_kind:     global_buffer
      - .address_space:  global
        .offset:         72
        .size:           8
        .value_kind:     global_buffer
      - .offset:         80
        .size:           8
        .value_kind:     by_value
      - .offset:         88
        .size:           8
        .value_kind:     by_value
      - .address_space:  global
        .offset:         96
        .size:           8
        .value_kind:     global_buffer
      - .offset:         104
        .size:           8
        .value_kind:     by_value
      - .offset:         112
        .size:           8
        .value_kind:     by_value
      - .offset:         120
        .size:           4
        .value_kind:     by_value
      - .offset:         124
        .size:           4
        .value_kind:     by_value
    .group_segment_fixed_size: 2048
    .kernarg_segment_align: 8
    .kernarg_segment_size: 128
    .language:       OpenCL C
    .language_version:
      - 2
      - 0
    .max_flat_workgroup_size: 256
    .name:           _ZN9rocsparse31csrmmnn_row_split_shared_kernelILj256ELj8EfiiDF16_DF16_fEEvNS_24const_host_device_scalarIT1_EES3_bbbT3_S4_llPKT2_PKS4_PKT4_PKT5_llPT6_ll16rocsparse_order_21rocsparse_index_base_
    .private_segment_fixed_size: 0
    .sgpr_count:     29
    .sgpr_spill_count: 0
    .symbol:         _ZN9rocsparse31csrmmnn_row_split_shared_kernelILj256ELj8EfiiDF16_DF16_fEEvNS_24const_host_device_scalarIT1_EES3_bbbT3_S4_llPKT2_PKS4_PKT4_PKT5_llPT6_ll16rocsparse_order_21rocsparse_index_base_.kd
    .uniform_work_group_size: 1
    .uses_dynamic_stack: false
    .vgpr_count:     29
    .vgpr_spill_count: 0
    .wavefront_size: 32
    .workgroup_processor_mode: 1
  - .args:
      - .offset:         0
        .size:           8
        .value_kind:     by_value
      - .offset:         8
        .size:           8
        .value_kind:     by_value
      - .offset:         16
        .size:           1
        .value_kind:     by_value
      - .offset:         17
        .size:           1
        .value_kind:     by_value
      - .offset:         18
        .size:           1
        .value_kind:     by_value
      - .offset:         20
        .size:           4
        .value_kind:     by_value
      - .offset:         24
        .size:           4
        .value_kind:     by_value
      - .offset:         32
        .size:           8
        .value_kind:     by_value
      - .offset:         40
        .size:           8
        .value_kind:     by_value
      - .address_space:  global
        .offset:         48
        .size:           8
        .value_kind:     global_buffer
      - .address_space:  global
        .offset:         56
        .size:           8
        .value_kind:     global_buffer
      - .address_space:  global
        .offset:         64
        .size:           8
        .value_kind:     global_buffer
      - .address_space:  global
        .offset:         72
        .size:           8
        .value_kind:     global_buffer
      - .offset:         80
        .size:           8
        .value_kind:     by_value
      - .offset:         88
        .size:           8
        .value_kind:     by_value
      - .address_space:  global
        .offset:         96
        .size:           8
        .value_kind:     global_buffer
      - .offset:         104
        .size:           8
        .value_kind:     by_value
      - .offset:         112
        .size:           8
        .value_kind:     by_value
      - .offset:         120
        .size:           4
        .value_kind:     by_value
      - .offset:         124
        .size:           4
        .value_kind:     by_value
    .group_segment_fixed_size: 2048
    .kernarg_segment_align: 8
    .kernarg_segment_size: 128
    .language:       OpenCL C
    .language_version:
      - 2
      - 0
    .max_flat_workgroup_size: 256
    .name:           _ZN9rocsparse31csrmmnn_row_split_shared_kernelILj256ELj8EfliDF16_DF16_fEEvNS_24const_host_device_scalarIT1_EES3_bbbT3_S4_llPKT2_PKS4_PKT4_PKT5_llPT6_ll16rocsparse_order_21rocsparse_index_base_
    .private_segment_fixed_size: 0
    .sgpr_count:     29
    .sgpr_spill_count: 0
    .symbol:         _ZN9rocsparse31csrmmnn_row_split_shared_kernelILj256ELj8EfliDF16_DF16_fEEvNS_24const_host_device_scalarIT1_EES3_bbbT3_S4_llPKT2_PKS4_PKT4_PKT5_llPT6_ll16rocsparse_order_21rocsparse_index_base_.kd
    .uniform_work_group_size: 1
    .uses_dynamic_stack: false
    .vgpr_count:     34
    .vgpr_spill_count: 0
    .wavefront_size: 32
    .workgroup_processor_mode: 1
  - .args:
      - .offset:         0
        .size:           8
        .value_kind:     by_value
      - .offset:         8
        .size:           8
        .value_kind:     by_value
      - .offset:         16
        .size:           1
        .value_kind:     by_value
      - .offset:         17
        .size:           1
        .value_kind:     by_value
      - .offset:         18
        .size:           1
        .value_kind:     by_value
      - .offset:         24
        .size:           8
        .value_kind:     by_value
      - .offset:         32
        .size:           8
        .value_kind:     by_value
      - .offset:         40
        .size:           8
        .value_kind:     by_value
      - .offset:         48
        .size:           8
        .value_kind:     by_value
      - .address_space:  global
        .offset:         56
        .size:           8
        .value_kind:     global_buffer
      - .address_space:  global
        .offset:         64
        .size:           8
        .value_kind:     global_buffer
      - .address_space:  global
        .offset:         72
        .size:           8
        .value_kind:     global_buffer
      - .address_space:  global
        .offset:         80
        .size:           8
        .value_kind:     global_buffer
      - .offset:         88
        .size:           8
        .value_kind:     by_value
      - .offset:         96
        .size:           8
        .value_kind:     by_value
      - .address_space:  global
        .offset:         104
        .size:           8
        .value_kind:     global_buffer
      - .offset:         112
        .size:           8
        .value_kind:     by_value
      - .offset:         120
        .size:           8
        .value_kind:     by_value
      - .offset:         128
        .size:           4
        .value_kind:     by_value
      - .offset:         132
        .size:           4
        .value_kind:     by_value
    .group_segment_fixed_size: 3072
    .kernarg_segment_align: 8
    .kernarg_segment_size: 136
    .language:       OpenCL C
    .language_version:
      - 2
      - 0
    .max_flat_workgroup_size: 256
    .name:           _ZN9rocsparse31csrmmnn_row_split_shared_kernelILj256ELj8EfllDF16_DF16_fEEvNS_24const_host_device_scalarIT1_EES3_bbbT3_S4_llPKT2_PKS4_PKT4_PKT5_llPT6_ll16rocsparse_order_21rocsparse_index_base_
    .private_segment_fixed_size: 0
    .sgpr_count:     42
    .sgpr_spill_count: 0
    .symbol:         _ZN9rocsparse31csrmmnn_row_split_shared_kernelILj256ELj8EfllDF16_DF16_fEEvNS_24const_host_device_scalarIT1_EES3_bbbT3_S4_llPKT2_PKS4_PKT4_PKT5_llPT6_ll16rocsparse_order_21rocsparse_index_base_.kd
    .uniform_work_group_size: 1
    .uses_dynamic_stack: false
    .vgpr_count:     39
    .vgpr_spill_count: 0
    .wavefront_size: 32
    .workgroup_processor_mode: 1
  - .args:
      - .offset:         0
        .size:           8
        .value_kind:     by_value
      - .offset:         8
        .size:           8
        .value_kind:     by_value
      - .offset:         16
        .size:           1
        .value_kind:     by_value
      - .offset:         17
        .size:           1
        .value_kind:     by_value
      - .offset:         18
        .size:           1
        .value_kind:     by_value
      - .offset:         20
        .size:           4
        .value_kind:     by_value
      - .offset:         24
        .size:           4
        .value_kind:     by_value
      - .offset:         32
        .size:           8
        .value_kind:     by_value
      - .offset:         40
        .size:           8
        .value_kind:     by_value
      - .address_space:  global
        .offset:         48
        .size:           8
        .value_kind:     global_buffer
      - .address_space:  global
        .offset:         56
        .size:           8
        .value_kind:     global_buffer
      - .address_space:  global
        .offset:         64
        .size:           8
        .value_kind:     global_buffer
      - .address_space:  global
        .offset:         72
        .size:           8
        .value_kind:     global_buffer
      - .offset:         80
        .size:           8
        .value_kind:     by_value
      - .offset:         88
        .size:           8
        .value_kind:     by_value
      - .address_space:  global
        .offset:         96
        .size:           8
        .value_kind:     global_buffer
      - .offset:         104
        .size:           8
        .value_kind:     by_value
      - .offset:         112
        .size:           8
        .value_kind:     by_value
      - .offset:         120
        .size:           4
        .value_kind:     by_value
      - .offset:         124
        .size:           4
        .value_kind:     by_value
    .group_segment_fixed_size: 2048
    .kernarg_segment_align: 8
    .kernarg_segment_size: 128
    .language:       OpenCL C
    .language_version:
      - 2
      - 0
    .max_flat_workgroup_size: 256
    .name:           _ZN9rocsparse31csrmmnn_row_split_shared_kernelILj256ELj8EiiiaaiEEvNS_24const_host_device_scalarIT1_EES3_bbbT3_S4_llPKT2_PKS4_PKT4_PKT5_llPT6_ll16rocsparse_order_21rocsparse_index_base_
    .private_segment_fixed_size: 0
    .sgpr_count:     27
    .sgpr_spill_count: 0
    .symbol:         _ZN9rocsparse31csrmmnn_row_split_shared_kernelILj256ELj8EiiiaaiEEvNS_24const_host_device_scalarIT1_EES3_bbbT3_S4_llPKT2_PKS4_PKT4_PKT5_llPT6_ll16rocsparse_order_21rocsparse_index_base_.kd
    .uniform_work_group_size: 1
    .uses_dynamic_stack: false
    .vgpr_count:     29
    .vgpr_spill_count: 0
    .wavefront_size: 32
    .workgroup_processor_mode: 1
  - .args:
      - .offset:         0
        .size:           8
        .value_kind:     by_value
      - .offset:         8
        .size:           8
        .value_kind:     by_value
      - .offset:         16
        .size:           1
        .value_kind:     by_value
      - .offset:         17
        .size:           1
        .value_kind:     by_value
      - .offset:         18
        .size:           1
        .value_kind:     by_value
      - .offset:         20
        .size:           4
        .value_kind:     by_value
      - .offset:         24
        .size:           4
        .value_kind:     by_value
      - .offset:         32
        .size:           8
        .value_kind:     by_value
      - .offset:         40
        .size:           8
        .value_kind:     by_value
      - .address_space:  global
        .offset:         48
        .size:           8
        .value_kind:     global_buffer
      - .address_space:  global
        .offset:         56
        .size:           8
        .value_kind:     global_buffer
      - .address_space:  global
        .offset:         64
        .size:           8
        .value_kind:     global_buffer
      - .address_space:  global
        .offset:         72
        .size:           8
        .value_kind:     global_buffer
      - .offset:         80
        .size:           8
        .value_kind:     by_value
      - .offset:         88
        .size:           8
        .value_kind:     by_value
      - .address_space:  global
        .offset:         96
        .size:           8
        .value_kind:     global_buffer
      - .offset:         104
        .size:           8
        .value_kind:     by_value
      - .offset:         112
        .size:           8
        .value_kind:     by_value
      - .offset:         120
        .size:           4
        .value_kind:     by_value
      - .offset:         124
        .size:           4
        .value_kind:     by_value
    .group_segment_fixed_size: 2048
    .kernarg_segment_align: 8
    .kernarg_segment_size: 128
    .language:       OpenCL C
    .language_version:
      - 2
      - 0
    .max_flat_workgroup_size: 256
    .name:           _ZN9rocsparse31csrmmnn_row_split_shared_kernelILj256ELj8EiliaaiEEvNS_24const_host_device_scalarIT1_EES3_bbbT3_S4_llPKT2_PKS4_PKT4_PKT5_llPT6_ll16rocsparse_order_21rocsparse_index_base_
    .private_segment_fixed_size: 0
    .sgpr_count:     27
    .sgpr_spill_count: 0
    .symbol:         _ZN9rocsparse31csrmmnn_row_split_shared_kernelILj256ELj8EiliaaiEEvNS_24const_host_device_scalarIT1_EES3_bbbT3_S4_llPKT2_PKS4_PKT4_PKT5_llPT6_ll16rocsparse_order_21rocsparse_index_base_.kd
    .uniform_work_group_size: 1
    .uses_dynamic_stack: false
    .vgpr_count:     34
    .vgpr_spill_count: 0
    .wavefront_size: 32
    .workgroup_processor_mode: 1
  - .args:
      - .offset:         0
        .size:           8
        .value_kind:     by_value
      - .offset:         8
        .size:           8
        .value_kind:     by_value
      - .offset:         16
        .size:           1
        .value_kind:     by_value
      - .offset:         17
        .size:           1
        .value_kind:     by_value
      - .offset:         18
        .size:           1
        .value_kind:     by_value
      - .offset:         24
        .size:           8
        .value_kind:     by_value
      - .offset:         32
        .size:           8
        .value_kind:     by_value
      - .offset:         40
        .size:           8
        .value_kind:     by_value
      - .offset:         48
        .size:           8
        .value_kind:     by_value
      - .address_space:  global
        .offset:         56
        .size:           8
        .value_kind:     global_buffer
      - .address_space:  global
        .offset:         64
        .size:           8
        .value_kind:     global_buffer
      - .address_space:  global
        .offset:         72
        .size:           8
        .value_kind:     global_buffer
      - .address_space:  global
        .offset:         80
        .size:           8
        .value_kind:     global_buffer
      - .offset:         88
        .size:           8
        .value_kind:     by_value
      - .offset:         96
        .size:           8
        .value_kind:     by_value
      - .address_space:  global
        .offset:         104
        .size:           8
        .value_kind:     global_buffer
      - .offset:         112
        .size:           8
        .value_kind:     by_value
      - .offset:         120
        .size:           8
        .value_kind:     by_value
      - .offset:         128
        .size:           4
        .value_kind:     by_value
      - .offset:         132
        .size:           4
        .value_kind:     by_value
    .group_segment_fixed_size: 3072
    .kernarg_segment_align: 8
    .kernarg_segment_size: 136
    .language:       OpenCL C
    .language_version:
      - 2
      - 0
    .max_flat_workgroup_size: 256
    .name:           _ZN9rocsparse31csrmmnn_row_split_shared_kernelILj256ELj8EillaaiEEvNS_24const_host_device_scalarIT1_EES3_bbbT3_S4_llPKT2_PKS4_PKT4_PKT5_llPT6_ll16rocsparse_order_21rocsparse_index_base_
    .private_segment_fixed_size: 0
    .sgpr_count:     37
    .sgpr_spill_count: 0
    .symbol:         _ZN9rocsparse31csrmmnn_row_split_shared_kernelILj256ELj8EillaaiEEvNS_24const_host_device_scalarIT1_EES3_bbbT3_S4_llPKT2_PKS4_PKT4_PKT5_llPT6_ll16rocsparse_order_21rocsparse_index_base_.kd
    .uniform_work_group_size: 1
    .uses_dynamic_stack: false
    .vgpr_count:     41
    .vgpr_spill_count: 0
    .wavefront_size: 32
    .workgroup_processor_mode: 1
  - .args:
      - .offset:         0
        .size:           8
        .value_kind:     by_value
      - .offset:         8
        .size:           8
        .value_kind:     by_value
      - .offset:         16
        .size:           1
        .value_kind:     by_value
      - .offset:         17
        .size:           1
        .value_kind:     by_value
      - .offset:         18
        .size:           1
        .value_kind:     by_value
      - .offset:         20
        .size:           4
        .value_kind:     by_value
      - .offset:         24
        .size:           4
        .value_kind:     by_value
      - .offset:         32
        .size:           8
        .value_kind:     by_value
      - .offset:         40
        .size:           8
        .value_kind:     by_value
      - .address_space:  global
        .offset:         48
        .size:           8
        .value_kind:     global_buffer
      - .address_space:  global
        .offset:         56
        .size:           8
        .value_kind:     global_buffer
      - .address_space:  global
        .offset:         64
        .size:           8
        .value_kind:     global_buffer
      - .address_space:  global
        .offset:         72
        .size:           8
        .value_kind:     global_buffer
      - .offset:         80
        .size:           8
        .value_kind:     by_value
      - .offset:         88
        .size:           8
        .value_kind:     by_value
      - .address_space:  global
        .offset:         96
        .size:           8
        .value_kind:     global_buffer
      - .offset:         104
        .size:           8
        .value_kind:     by_value
      - .offset:         112
        .size:           8
        .value_kind:     by_value
      - .offset:         120
        .size:           4
        .value_kind:     by_value
      - .offset:         124
        .size:           4
        .value_kind:     by_value
    .group_segment_fixed_size: 2048
    .kernarg_segment_align: 8
    .kernarg_segment_size: 128
    .language:       OpenCL C
    .language_version:
      - 2
      - 0
    .max_flat_workgroup_size: 256
    .name:           _ZN9rocsparse31csrmmnn_row_split_shared_kernelILj256ELj8EfiiaafEEvNS_24const_host_device_scalarIT1_EES3_bbbT3_S4_llPKT2_PKS4_PKT4_PKT5_llPT6_ll16rocsparse_order_21rocsparse_index_base_
    .private_segment_fixed_size: 0
    .sgpr_count:     29
    .sgpr_spill_count: 0
    .symbol:         _ZN9rocsparse31csrmmnn_row_split_shared_kernelILj256ELj8EfiiaafEEvNS_24const_host_device_scalarIT1_EES3_bbbT3_S4_llPKT2_PKS4_PKT4_PKT5_llPT6_ll16rocsparse_order_21rocsparse_index_base_.kd
    .uniform_work_group_size: 1
    .uses_dynamic_stack: false
    .vgpr_count:     29
    .vgpr_spill_count: 0
    .wavefront_size: 32
    .workgroup_processor_mode: 1
  - .args:
      - .offset:         0
        .size:           8
        .value_kind:     by_value
      - .offset:         8
        .size:           8
        .value_kind:     by_value
      - .offset:         16
        .size:           1
        .value_kind:     by_value
      - .offset:         17
        .size:           1
        .value_kind:     by_value
      - .offset:         18
        .size:           1
        .value_kind:     by_value
      - .offset:         20
        .size:           4
        .value_kind:     by_value
      - .offset:         24
        .size:           4
        .value_kind:     by_value
      - .offset:         32
        .size:           8
        .value_kind:     by_value
      - .offset:         40
        .size:           8
        .value_kind:     by_value
      - .address_space:  global
        .offset:         48
        .size:           8
        .value_kind:     global_buffer
      - .address_space:  global
        .offset:         56
        .size:           8
        .value_kind:     global_buffer
      - .address_space:  global
        .offset:         64
        .size:           8
        .value_kind:     global_buffer
      - .address_space:  global
        .offset:         72
        .size:           8
        .value_kind:     global_buffer
      - .offset:         80
        .size:           8
        .value_kind:     by_value
      - .offset:         88
        .size:           8
        .value_kind:     by_value
      - .address_space:  global
        .offset:         96
        .size:           8
        .value_kind:     global_buffer
      - .offset:         104
        .size:           8
        .value_kind:     by_value
      - .offset:         112
        .size:           8
        .value_kind:     by_value
      - .offset:         120
        .size:           4
        .value_kind:     by_value
      - .offset:         124
        .size:           4
        .value_kind:     by_value
    .group_segment_fixed_size: 2048
    .kernarg_segment_align: 8
    .kernarg_segment_size: 128
    .language:       OpenCL C
    .language_version:
      - 2
      - 0
    .max_flat_workgroup_size: 256
    .name:           _ZN9rocsparse31csrmmnn_row_split_shared_kernelILj256ELj8EfliaafEEvNS_24const_host_device_scalarIT1_EES3_bbbT3_S4_llPKT2_PKS4_PKT4_PKT5_llPT6_ll16rocsparse_order_21rocsparse_index_base_
    .private_segment_fixed_size: 0
    .sgpr_count:     29
    .sgpr_spill_count: 0
    .symbol:         _ZN9rocsparse31csrmmnn_row_split_shared_kernelILj256ELj8EfliaafEEvNS_24const_host_device_scalarIT1_EES3_bbbT3_S4_llPKT2_PKS4_PKT4_PKT5_llPT6_ll16rocsparse_order_21rocsparse_index_base_.kd
    .uniform_work_group_size: 1
    .uses_dynamic_stack: false
    .vgpr_count:     34
    .vgpr_spill_count: 0
    .wavefront_size: 32
    .workgroup_processor_mode: 1
  - .args:
      - .offset:         0
        .size:           8
        .value_kind:     by_value
      - .offset:         8
        .size:           8
        .value_kind:     by_value
      - .offset:         16
        .size:           1
        .value_kind:     by_value
      - .offset:         17
        .size:           1
        .value_kind:     by_value
      - .offset:         18
        .size:           1
        .value_kind:     by_value
      - .offset:         24
        .size:           8
        .value_kind:     by_value
      - .offset:         32
        .size:           8
        .value_kind:     by_value
      - .offset:         40
        .size:           8
        .value_kind:     by_value
      - .offset:         48
        .size:           8
        .value_kind:     by_value
      - .address_space:  global
        .offset:         56
        .size:           8
        .value_kind:     global_buffer
      - .address_space:  global
        .offset:         64
        .size:           8
        .value_kind:     global_buffer
      - .address_space:  global
        .offset:         72
        .size:           8
        .value_kind:     global_buffer
      - .address_space:  global
        .offset:         80
        .size:           8
        .value_kind:     global_buffer
      - .offset:         88
        .size:           8
        .value_kind:     by_value
      - .offset:         96
        .size:           8
        .value_kind:     by_value
      - .address_space:  global
        .offset:         104
        .size:           8
        .value_kind:     global_buffer
      - .offset:         112
        .size:           8
        .value_kind:     by_value
      - .offset:         120
        .size:           8
        .value_kind:     by_value
      - .offset:         128
        .size:           4
        .value_kind:     by_value
      - .offset:         132
        .size:           4
        .value_kind:     by_value
    .group_segment_fixed_size: 3072
    .kernarg_segment_align: 8
    .kernarg_segment_size: 136
    .language:       OpenCL C
    .language_version:
      - 2
      - 0
    .max_flat_workgroup_size: 256
    .name:           _ZN9rocsparse31csrmmnn_row_split_shared_kernelILj256ELj8EfllaafEEvNS_24const_host_device_scalarIT1_EES3_bbbT3_S4_llPKT2_PKS4_PKT4_PKT5_llPT6_ll16rocsparse_order_21rocsparse_index_base_
    .private_segment_fixed_size: 0
    .sgpr_count:     42
    .sgpr_spill_count: 0
    .symbol:         _ZN9rocsparse31csrmmnn_row_split_shared_kernelILj256ELj8EfllaafEEvNS_24const_host_device_scalarIT1_EES3_bbbT3_S4_llPKT2_PKS4_PKT4_PKT5_llPT6_ll16rocsparse_order_21rocsparse_index_base_.kd
    .uniform_work_group_size: 1
    .uses_dynamic_stack: false
    .vgpr_count:     40
    .vgpr_spill_count: 0
    .wavefront_size: 32
    .workgroup_processor_mode: 1
amdhsa.target:   amdgcn-amd-amdhsa--gfx1201
amdhsa.version:
  - 1
  - 2
...

	.end_amdgpu_metadata
